;; amdgpu-corpus repo=ROCm/rocFFT kind=compiled arch=gfx90a opt=O3
	.text
	.amdgcn_target "amdgcn-amd-amdhsa--gfx90a"
	.amdhsa_code_object_version 6
	.protected	bluestein_single_back_len480_dim1_dp_op_CI_CI ; -- Begin function bluestein_single_back_len480_dim1_dp_op_CI_CI
	.globl	bluestein_single_back_len480_dim1_dp_op_CI_CI
	.p2align	8
	.type	bluestein_single_back_len480_dim1_dp_op_CI_CI,@function
bluestein_single_back_len480_dim1_dp_op_CI_CI: ; @bluestein_single_back_len480_dim1_dp_op_CI_CI
; %bb.0:
	s_load_dwordx4 s[12:15], s[4:5], 0x28
	s_mov_b64 s[26:27], s[2:3]
	s_mov_b64 s[24:25], s[0:1]
	v_lshrrev_b32_e32 v1, 4, v0
	v_mov_b32_e32 v109, 0
	s_add_u32 s24, s24, s7
	v_lshl_or_b32 v4, s6, 2, v1
	v_mov_b32_e32 v5, v109
	s_addc_u32 s25, s25, 0
	s_waitcnt lgkmcnt(0)
	v_cmp_gt_u64_e32 vcc, s[12:13], v[4:5]
	s_and_saveexec_b64 s[0:1], vcc
	s_cbranch_execz .LBB0_10
; %bb.1:
	s_load_dwordx4 s[8:11], s[4:5], 0x0
	s_load_dwordx4 s[0:3], s[4:5], 0x18
	s_load_dwordx2 s[12:13], s[4:5], 0x38
	v_and_b32_e32 v158, 15, v0
	v_mul_u32_u24_e32 v159, 0x1e0, v1
	v_accvgpr_write_b32 a82, v4
	s_waitcnt lgkmcnt(0)
	s_load_dwordx4 s[4:7], s[2:3], 0x0
	v_lshlrev_b32_e32 v227, 4, v158
	s_load_dwordx4 s[0:3], s[0:1], 0x0
	global_load_dwordx4 v[10:13], v227, s[8:9]
	v_or_b32_e32 v6, v159, v158
	v_lshlrev_b32_e32 v230, 4, v6
	v_lshl_or_b32 v224, v159, 4, v227
	s_waitcnt lgkmcnt(0)
	v_mad_u64_u32 v[0:1], s[16:17], s2, v4, 0
	v_mov_b32_e32 v2, v1
	v_mad_u64_u32 v[2:3], s[2:3], s3, v4, v[2:3]
	v_mov_b32_e32 v1, v2
	v_mad_u64_u32 v[2:3], s[2:3], s0, v158, 0
	v_mov_b32_e32 v4, v3
	v_mad_u64_u32 v[4:5], s[2:3], s1, v158, v[4:5]
	v_lshlrev_b64 v[0:1], 4, v[0:1]
	v_mov_b32_e32 v3, v4
	v_add_co_u32_e32 v4, vcc, s14, v0
	v_mov_b32_e32 v0, s15
	v_addc_co_u32_e32 v5, vcc, v0, v1, vcc
	v_lshlrev_b64 v[0:1], 4, v[2:3]
	v_add_co_u32_e32 v8, vcc, v4, v0
	v_addc_co_u32_e32 v9, vcc, v5, v1, vcc
	global_load_dwordx4 v[0:3], v[8:9], off
	s_mov_b32 s16, 0x134454ff
	s_mov_b32 s17, 0x3fee6f0e
	;; [unrolled: 1-line block ×6, first 2 shown]
	v_or_b32_e32 v156, 16, v158
	v_or_b32_e32 v157, 32, v158
	;; [unrolled: 1-line block ×3, first 2 shown]
	v_accvgpr_write_b32 a45, v159
	v_cmp_gt_u64_e32 vcc, 60, v[108:109]
                                        ; implicit-def: $vgpr236_vgpr237
                                        ; implicit-def: $vgpr232_vgpr233
	s_waitcnt vmcnt(1)
	v_accvgpr_write_b32 a57, v13
	v_accvgpr_write_b32 a56, v12
	;; [unrolled: 1-line block ×4, first 2 shown]
	s_waitcnt vmcnt(0)
	v_mul_f64 v[4:5], v[2:3], v[12:13]
	v_fmac_f64_e32 v[4:5], v[0:1], v[10:11]
	v_mul_f64 v[0:1], v[0:1], v[12:13]
	v_fma_f64 v[6:7], v[2:3], v[10:11], -v[0:1]
	v_mov_b32_e32 v0, 0x300
	v_mad_u64_u32 v[10:11], s[2:3], s0, v0, v[8:9]
	s_mul_i32 s2, s1, 0x300
	ds_write_b128 v230, v[4:7]
	v_add_u32_e32 v11, s2, v11
	global_load_dwordx4 v[2:5], v[10:11], off
	global_load_dwordx4 v[12:15], v227, s[8:9] offset:768
	v_mad_u64_u32 v[10:11], s[14:15], s0, v0, v[10:11]
	v_add_u32_e32 v11, s2, v11
	v_or_b32_e32 v1, 0x120, v158
	v_lshlrev_b32_e32 v1, 4, v1
	s_mulk_i32 s1, 0xe600
	s_sub_i32 s1, s1, s0
	s_waitcnt vmcnt(0)
	v_mul_f64 v[6:7], v[4:5], v[14:15]
	v_fmac_f64_e32 v[6:7], v[2:3], v[12:13]
	v_mul_f64 v[2:3], v[2:3], v[14:15]
	buffer_store_dword v12, off, s[24:27], 0 offset:52 ; 4-byte Folded Spill
	s_nop 0
	buffer_store_dword v13, off, s[24:27], 0 offset:56 ; 4-byte Folded Spill
	buffer_store_dword v14, off, s[24:27], 0 offset:60 ; 4-byte Folded Spill
	buffer_store_dword v15, off, s[24:27], 0 offset:64 ; 4-byte Folded Spill
	v_fma_f64 v[8:9], v[4:5], v[12:13], -v[2:3]
	ds_write_b128 v224, v[6:9] offset:768
	global_load_dwordx4 v[2:5], v[10:11], off
	global_load_dwordx4 v[12:15], v227, s[8:9] offset:1536
	v_mad_u64_u32 v[10:11], s[14:15], s0, v0, v[10:11]
	v_add_u32_e32 v11, s2, v11
	s_waitcnt vmcnt(0)
	v_mul_f64 v[6:7], v[4:5], v[14:15]
	v_fmac_f64_e32 v[6:7], v[2:3], v[12:13]
	v_mul_f64 v[2:3], v[2:3], v[14:15]
	buffer_store_dword v12, off, s[24:27], 0 offset:88 ; 4-byte Folded Spill
	s_nop 0
	buffer_store_dword v13, off, s[24:27], 0 offset:92 ; 4-byte Folded Spill
	buffer_store_dword v14, off, s[24:27], 0 offset:96 ; 4-byte Folded Spill
	buffer_store_dword v15, off, s[24:27], 0 offset:100 ; 4-byte Folded Spill
	v_fma_f64 v[8:9], v[4:5], v[12:13], -v[2:3]
	ds_write_b128 v224, v[6:9] offset:1536
	global_load_dwordx4 v[2:5], v[10:11], off
	global_load_dwordx4 v[12:15], v227, s[8:9] offset:2304
	v_mad_u64_u32 v[10:11], s[14:15], s0, v0, v[10:11]
	v_add_u32_e32 v11, s2, v11
	s_waitcnt vmcnt(0)
	v_mul_f64 v[6:7], v[4:5], v[14:15]
	v_fmac_f64_e32 v[6:7], v[2:3], v[12:13]
	v_mul_f64 v[2:3], v[2:3], v[14:15]
	buffer_store_dword v12, off, s[24:27], 0 offset:68 ; 4-byte Folded Spill
	s_nop 0
	buffer_store_dword v13, off, s[24:27], 0 offset:72 ; 4-byte Folded Spill
	buffer_store_dword v14, off, s[24:27], 0 offset:76 ; 4-byte Folded Spill
	buffer_store_dword v15, off, s[24:27], 0 offset:80 ; 4-byte Folded Spill
	v_fma_f64 v[8:9], v[4:5], v[12:13], -v[2:3]
	ds_write_b128 v224, v[6:9] offset:2304
	global_load_dwordx4 v[2:5], v[10:11], off
	global_load_dwordx4 v[12:15], v227, s[8:9] offset:3072
	v_mad_u64_u32 v[10:11], s[14:15], s0, v0, v[10:11]
	v_add_u32_e32 v11, s2, v11
	s_waitcnt vmcnt(0)
	v_mul_f64 v[6:7], v[4:5], v[14:15]
	v_fmac_f64_e32 v[6:7], v[2:3], v[12:13]
	v_mul_f64 v[2:3], v[2:3], v[14:15]
	v_fma_f64 v[8:9], v[4:5], v[12:13], -v[2:3]
	v_accvgpr_write_b32 a23, v15
	ds_write_b128 v224, v[6:9] offset:3072
	v_accvgpr_write_b32 a22, v14
	v_accvgpr_write_b32 a21, v13
	;; [unrolled: 1-line block ×3, first 2 shown]
	global_load_dwordx4 v[2:5], v[10:11], off
	global_load_dwordx4 v[12:15], v227, s[8:9] offset:3840
	v_mad_u64_u32 v[10:11], s[14:15], s0, v0, v[10:11]
	v_add_u32_e32 v11, s2, v11
	buffer_store_dword v1, off, s[24:27], 0 offset:36 ; 4-byte Folded Spill
	s_waitcnt vmcnt(1)
	v_mul_f64 v[6:7], v[4:5], v[14:15]
	v_fmac_f64_e32 v[6:7], v[2:3], v[12:13]
	v_mul_f64 v[2:3], v[2:3], v[14:15]
	v_accvgpr_write_b32 a12, v12
	v_accvgpr_write_b32 a13, v13
	v_accvgpr_write_b32 a14, v14
	v_accvgpr_write_b32 a15, v15
	v_fma_f64 v[8:9], v[4:5], v[12:13], -v[2:3]
	global_load_dwordx4 v[2:5], v[10:11], off
	global_load_dwordx4 v[12:15], v1, s[8:9]
	ds_write_b128 v224, v[6:9] offset:3840
	v_or_b32_e32 v1, 0x150, v158
	v_mad_u64_u32 v[10:11], s[14:15], s0, v0, v[10:11]
	v_add_u32_e32 v11, s2, v11
	v_lshlrev_b32_e32 v1, 4, v1
	buffer_store_dword v1, off, s[24:27], 0 offset:24 ; 4-byte Folded Spill
	s_waitcnt vmcnt(1)
	v_mul_f64 v[6:7], v[4:5], v[14:15]
	v_fmac_f64_e32 v[6:7], v[2:3], v[12:13]
	v_mul_f64 v[2:3], v[2:3], v[14:15]
	v_accvgpr_write_b32 a27, v15
	v_accvgpr_write_b32 a26, v14
	v_accvgpr_write_b32 a25, v13
	v_accvgpr_write_b32 a24, v12
	v_fma_f64 v[8:9], v[4:5], v[12:13], -v[2:3]
	global_load_dwordx4 v[2:5], v[10:11], off
	global_load_dwordx4 v[12:15], v1, s[8:9]
	ds_write_b128 v224, v[6:9] offset:4608
	v_or_b32_e32 v1, 0x180, v158
	v_mad_u64_u32 v[10:11], s[14:15], s0, v0, v[10:11]
	v_add_u32_e32 v11, s2, v11
	v_lshlrev_b32_e32 v1, 4, v1
	;; [unrolled: 17-line block ×3, first 2 shown]
	buffer_store_dword v1, off, s[24:27], 0 offset:32 ; 4-byte Folded Spill
	s_waitcnt vmcnt(1)
	v_mul_f64 v[6:7], v[4:5], v[14:15]
	v_fmac_f64_e32 v[6:7], v[2:3], v[12:13]
	v_mul_f64 v[2:3], v[2:3], v[14:15]
	v_accvgpr_write_b32 a35, v15
	v_accvgpr_write_b32 a34, v14
	;; [unrolled: 1-line block ×4, first 2 shown]
	v_fma_f64 v[8:9], v[4:5], v[12:13], -v[2:3]
	global_load_dwordx4 v[2:5], v[10:11], off
	global_load_dwordx4 v[12:15], v1, s[8:9]
	ds_write_b128 v224, v[6:9] offset:6144
	v_mov_b32_e32 v1, 0xffffe600
	v_mad_u64_u32 v[10:11], s[14:15], s0, v1, v[10:11]
	v_add_u32_e32 v11, s1, v11
	s_waitcnt vmcnt(0)
	v_mul_f64 v[6:7], v[4:5], v[14:15]
	v_fmac_f64_e32 v[6:7], v[2:3], v[12:13]
	v_mul_f64 v[2:3], v[2:3], v[14:15]
	v_fma_f64 v[8:9], v[4:5], v[12:13], -v[2:3]
	v_accvgpr_write_b32 a31, v15
	ds_write_b128 v224, v[6:9] offset:6912
	v_accvgpr_write_b32 a30, v14
	v_accvgpr_write_b32 a29, v13
	v_accvgpr_write_b32 a28, v12
	global_load_dwordx4 v[2:5], v[10:11], off
	global_load_dwordx4 v[12:15], v227, s[8:9] offset:256
	v_mad_u64_u32 v[10:11], s[14:15], s0, v0, v[10:11]
	v_add_u32_e32 v11, s2, v11
	s_waitcnt vmcnt(0)
	v_mul_f64 v[6:7], v[4:5], v[14:15]
	v_fmac_f64_e32 v[6:7], v[2:3], v[12:13]
	v_mul_f64 v[2:3], v[2:3], v[14:15]
	v_fma_f64 v[8:9], v[4:5], v[12:13], -v[2:3]
	v_accvgpr_write_b32 a39, v15
	ds_write_b128 v224, v[6:9] offset:256
	v_accvgpr_write_b32 a38, v14
	v_accvgpr_write_b32 a37, v13
	v_accvgpr_write_b32 a36, v12
	global_load_dwordx4 v[2:5], v[10:11], off
	global_load_dwordx4 v[12:15], v227, s[8:9] offset:1024
	;; [unrolled: 14-line block ×5, first 2 shown]
	v_mad_u64_u32 v[10:11], s[14:15], s0, v0, v[10:11]
	v_add_u32_e32 v11, s2, v11
	s_waitcnt vmcnt(0)
	v_mul_f64 v[6:7], v[4:5], v[14:15]
	v_fmac_f64_e32 v[6:7], v[2:3], v[12:13]
	v_mul_f64 v[2:3], v[2:3], v[14:15]
	v_fma_f64 v[8:9], v[4:5], v[12:13], -v[2:3]
	ds_write_b128 v224, v[6:9] offset:3328
	v_or_b32_e32 v6, 0x100, v158
	v_accvgpr_write_b32 a61, v15
	v_lshlrev_b32_e32 v6, 4, v6
	v_accvgpr_write_b32 a60, v14
	v_accvgpr_write_b32 a59, v13
	v_accvgpr_write_b32 a58, v12
	global_load_dwordx4 v[2:5], v[10:11], off
	global_load_dwordx4 v[12:15], v6, s[8:9]
	v_mad_u64_u32 v[10:11], s[14:15], s0, v0, v[10:11]
	buffer_store_dword v6, off, s[24:27], 0 offset:16 ; 4-byte Folded Spill
	v_add_u32_e32 v11, s2, v11
	s_waitcnt vmcnt(1)
	v_mul_f64 v[6:7], v[4:5], v[14:15]
	v_fmac_f64_e32 v[6:7], v[2:3], v[12:13]
	v_mul_f64 v[2:3], v[2:3], v[14:15]
	v_fma_f64 v[8:9], v[4:5], v[12:13], -v[2:3]
	ds_write_b128 v224, v[6:9] offset:4096
	v_or_b32_e32 v6, 0x130, v158
	v_accvgpr_write_b32 a65, v15
	v_lshlrev_b32_e32 v6, 4, v6
	v_accvgpr_write_b32 a64, v14
	v_accvgpr_write_b32 a63, v13
	v_accvgpr_write_b32 a62, v12
	global_load_dwordx4 v[2:5], v[10:11], off
	global_load_dwordx4 v[12:15], v6, s[8:9]
	v_mad_u64_u32 v[10:11], s[14:15], s0, v0, v[10:11]
	buffer_store_dword v6, off, s[24:27], 0 offset:20 ; 4-byte Folded Spill
	;; [unrolled: 17-line block ×5, first 2 shown]
	v_add_u32_e32 v11, s1, v11
	v_or_b32_e32 v1, 0x110, v158
	v_lshlrev_b32_e32 v1, 4, v1
	s_waitcnt vmcnt(1)
	v_mul_f64 v[6:7], v[4:5], v[14:15]
	v_fmac_f64_e32 v[6:7], v[2:3], v[12:13]
	v_mul_f64 v[2:3], v[2:3], v[14:15]
	v_fma_f64 v[8:9], v[4:5], v[12:13], -v[2:3]
	v_accvgpr_write_b32 a69, v15
	ds_write_b128 v224, v[6:9] offset:7168
	v_accvgpr_write_b32 a68, v14
	v_accvgpr_write_b32 a67, v13
	v_accvgpr_write_b32 a66, v12
	global_load_dwordx4 v[2:5], v[10:11], off
	global_load_dwordx4 v[12:15], v227, s[8:9] offset:512
	v_mad_u64_u32 v[10:11], s[14:15], s0, v0, v[10:11]
	v_add_u32_e32 v11, s2, v11
	s_waitcnt vmcnt(0)
	v_mul_f64 v[6:7], v[4:5], v[14:15]
	v_fmac_f64_e32 v[6:7], v[2:3], v[12:13]
	v_mul_f64 v[2:3], v[2:3], v[14:15]
	v_fma_f64 v[8:9], v[4:5], v[12:13], -v[2:3]
	v_accvgpr_write_b32 a87, v15
	ds_write_b128 v224, v[6:9] offset:512
	v_accvgpr_write_b32 a86, v14
	v_accvgpr_write_b32 a85, v13
	v_accvgpr_write_b32 a84, v12
	global_load_dwordx4 v[2:5], v[10:11], off
	global_load_dwordx4 v[12:15], v227, s[8:9] offset:1280
	v_mad_u64_u32 v[10:11], s[14:15], s0, v0, v[10:11]
	v_add_u32_e32 v11, s2, v11
	;; [unrolled: 14-line block ×5, first 2 shown]
	buffer_store_dword v1, off, s[24:27], 0 offset:84 ; 4-byte Folded Spill
	s_waitcnt vmcnt(1)
	v_mul_f64 v[6:7], v[4:5], v[14:15]
	v_fmac_f64_e32 v[6:7], v[2:3], v[12:13]
	v_mul_f64 v[2:3], v[2:3], v[14:15]
	v_accvgpr_write_b32 a103, v15
	v_accvgpr_write_b32 a102, v14
	v_accvgpr_write_b32 a101, v13
	v_accvgpr_write_b32 a100, v12
	v_fma_f64 v[8:9], v[4:5], v[12:13], -v[2:3]
	global_load_dwordx4 v[2:5], v[10:11], off
	global_load_dwordx4 v[12:15], v1, s[8:9]
	ds_write_b128 v224, v[6:9] offset:3584
	v_or_b32_e32 v1, 0x140, v158
	v_mad_u64_u32 v[10:11], s[14:15], s0, v0, v[10:11]
	v_add_u32_e32 v11, s2, v11
	v_lshlrev_b32_e32 v1, 4, v1
	buffer_store_dword v1, off, s[24:27], 0 offset:40 ; 4-byte Folded Spill
	s_waitcnt vmcnt(1)
	v_mul_f64 v[6:7], v[4:5], v[14:15]
	v_fmac_f64_e32 v[6:7], v[2:3], v[12:13]
	v_mul_f64 v[2:3], v[2:3], v[14:15]
	v_accvgpr_write_b32 a107, v15
	v_accvgpr_write_b32 a106, v14
	v_accvgpr_write_b32 a105, v13
	v_accvgpr_write_b32 a104, v12
	v_fma_f64 v[8:9], v[4:5], v[12:13], -v[2:3]
	global_load_dwordx4 v[2:5], v[10:11], off
	global_load_dwordx4 v[12:15], v1, s[8:9]
	ds_write_b128 v224, v[6:9] offset:4352
	v_or_b32_e32 v1, 0x170, v158
	v_mad_u64_u32 v[10:11], s[14:15], s0, v0, v[10:11]
	v_add_u32_e32 v11, s2, v11
	v_lshlrev_b32_e32 v1, 4, v1
	;; [unrolled: 17-line block ×3, first 2 shown]
	buffer_store_dword v1, off, s[24:27], 0 offset:48 ; 4-byte Folded Spill
	s_mov_b32 s15, 0xbfee6f0e
	s_mov_b32 s14, s16
	s_waitcnt vmcnt(1)
	v_mul_f64 v[6:7], v[4:5], v[14:15]
	v_fmac_f64_e32 v[6:7], v[2:3], v[12:13]
	v_mul_f64 v[2:3], v[2:3], v[14:15]
	v_accvgpr_write_b32 a115, v15
	v_accvgpr_write_b32 a114, v14
	;; [unrolled: 1-line block ×4, first 2 shown]
	v_fma_f64 v[8:9], v[4:5], v[12:13], -v[2:3]
	global_load_dwordx4 v[2:5], v[10:11], off
	global_load_dwordx4 v[12:15], v1, s[8:9]
	ds_write_b128 v224, v[6:9] offset:5888
	v_mad_u64_u32 v[0:1], s[0:1], s0, v0, v[10:11]
	v_add_u32_e32 v1, s2, v1
	s_mov_b32 s2, 0x372fe950
	s_mov_b32 s1, 0xbfe2cf23
	;; [unrolled: 1-line block ×4, first 2 shown]
	s_waitcnt vmcnt(0)
	v_mul_f64 v[6:7], v[4:5], v[14:15]
	v_fmac_f64_e32 v[6:7], v[2:3], v[12:13]
	v_mul_f64 v[2:3], v[2:3], v[14:15]
	v_fma_f64 v[8:9], v[4:5], v[12:13], -v[2:3]
	v_or_b32_e32 v4, 0x1d0, v158
	v_lshlrev_b32_e32 v4, 4, v4
	ds_write_b128 v224, v[6:9] offset:6656
	global_load_dwordx4 v[0:3], v[0:1], off
	v_accvgpr_write_b32 a136, v4
	global_load_dwordx4 v[6:9], v4, s[8:9]
	v_accvgpr_write_b32 a119, v15
	v_accvgpr_write_b32 a118, v14
	;; [unrolled: 1-line block ×4, first 2 shown]
	s_waitcnt vmcnt(0)
	v_mul_f64 v[4:5], v[2:3], v[8:9]
	v_fmac_f64_e32 v[4:5], v[0:1], v[6:7]
	v_mul_f64 v[0:1], v[0:1], v[8:9]
	v_accvgpr_write_b32 a123, v9
	v_accvgpr_write_b32 a122, v8
	;; [unrolled: 1-line block ×4, first 2 shown]
	v_fma_f64 v[6:7], v[2:3], v[6:7], -v[0:1]
	ds_write_b128 v224, v[4:7] offset:7424
	s_waitcnt lgkmcnt(0)
	; wave barrier
	s_waitcnt lgkmcnt(0)
	ds_read_b128 v[40:43], v230
	ds_read_b128 v[28:31], v224 offset:768
	ds_read_b128 v[20:23], v224 offset:1536
	;; [unrolled: 1-line block ×29, first 2 shown]
	s_waitcnt lgkmcnt(14)
	v_add_f64 v[100:101], v[40:41], v[20:21]
	v_add_f64 v[100:101], v[100:101], v[32:33]
	;; [unrolled: 1-line block ×5, first 2 shown]
	v_fma_f64 v[100:101], -0.5, v[100:101], v[40:41]
	v_add_f64 v[106:107], v[22:23], -v[46:47]
	v_fma_f64 v[104:105], s[16:17], v[106:107], v[100:101]
	v_add_f64 v[110:111], v[34:35], -v[38:39]
	v_add_f64 v[112:113], v[20:21], -v[32:33]
	;; [unrolled: 1-line block ×3, first 2 shown]
	v_fmac_f64_e32 v[100:101], s[14:15], v[106:107]
	v_fmac_f64_e32 v[104:105], s[18:19], v[110:111]
	v_add_f64 v[112:113], v[112:113], v[114:115]
	v_fmac_f64_e32 v[100:101], s[0:1], v[110:111]
	v_fmac_f64_e32 v[104:105], s[2:3], v[112:113]
	v_fmac_f64_e32 v[100:101], s[2:3], v[112:113]
	v_add_f64 v[112:113], v[20:21], v[44:45]
	v_fmac_f64_e32 v[40:41], -0.5, v[112:113]
	v_fma_f64 v[114:115], s[14:15], v[110:111], v[40:41]
	v_fmac_f64_e32 v[40:41], s[16:17], v[110:111]
	v_fmac_f64_e32 v[114:115], s[18:19], v[106:107]
	;; [unrolled: 1-line block ×3, first 2 shown]
	v_add_f64 v[106:107], v[42:43], v[22:23]
	v_add_f64 v[106:107], v[106:107], v[34:35]
	;; [unrolled: 1-line block ×3, first 2 shown]
	v_add_f64 v[112:113], v[32:33], -v[20:21]
	v_add_f64 v[116:117], v[36:37], -v[44:45]
	v_add_f64 v[110:111], v[106:107], v[46:47]
	v_add_f64 v[106:107], v[34:35], v[38:39]
	;; [unrolled: 1-line block ×3, first 2 shown]
	v_fma_f64 v[106:107], -0.5, v[106:107], v[42:43]
	v_add_f64 v[20:21], v[20:21], -v[44:45]
	v_fmac_f64_e32 v[114:115], s[2:3], v[112:113]
	v_fmac_f64_e32 v[40:41], s[2:3], v[112:113]
	v_fma_f64 v[112:113], s[14:15], v[20:21], v[106:107]
	v_add_f64 v[32:33], v[32:33], -v[36:37]
	v_add_f64 v[36:37], v[22:23], -v[34:35]
	;; [unrolled: 1-line block ×3, first 2 shown]
	v_fmac_f64_e32 v[106:107], s[16:17], v[20:21]
	v_fmac_f64_e32 v[112:113], s[0:1], v[32:33]
	v_add_f64 v[36:37], v[36:37], v[44:45]
	v_fmac_f64_e32 v[106:107], s[18:19], v[32:33]
	v_fmac_f64_e32 v[112:113], s[2:3], v[36:37]
	;; [unrolled: 1-line block ×3, first 2 shown]
	v_add_f64 v[36:37], v[22:23], v[46:47]
	v_fmac_f64_e32 v[42:43], -0.5, v[36:37]
	v_fma_f64 v[116:117], s[16:17], v[32:33], v[42:43]
	v_fmac_f64_e32 v[42:43], s[14:15], v[32:33]
	v_fmac_f64_e32 v[116:117], s[0:1], v[20:21]
	;; [unrolled: 1-line block ×3, first 2 shown]
	v_add_f64 v[20:21], v[28:29], v[4:5]
	v_add_f64 v[20:21], v[20:21], v[8:9]
	;; [unrolled: 1-line block ×3, first 2 shown]
	v_add_f64 v[22:23], v[34:35], -v[22:23]
	v_add_f64 v[34:35], v[38:39], -v[46:47]
	v_add_f64 v[32:33], v[20:21], v[16:17]
	v_add_f64 v[20:21], v[8:9], v[12:13]
	v_add_f64 v[22:23], v[22:23], v[34:35]
	v_fma_f64 v[34:35], -0.5, v[20:21], v[28:29]
	v_add_f64 v[20:21], v[6:7], -v[18:19]
	v_fmac_f64_e32 v[116:117], s[2:3], v[22:23]
	v_fmac_f64_e32 v[42:43], s[2:3], v[22:23]
	v_fma_f64 v[22:23], s[16:17], v[20:21], v[34:35]
	v_add_f64 v[36:37], v[10:11], -v[14:15]
	v_add_f64 v[38:39], v[4:5], -v[8:9]
	;; [unrolled: 1-line block ×3, first 2 shown]
	v_fmac_f64_e32 v[34:35], s[14:15], v[20:21]
	v_fmac_f64_e32 v[22:23], s[18:19], v[36:37]
	v_add_f64 v[38:39], v[38:39], v[44:45]
	v_fmac_f64_e32 v[34:35], s[0:1], v[36:37]
	v_fmac_f64_e32 v[22:23], s[2:3], v[38:39]
	;; [unrolled: 1-line block ×3, first 2 shown]
	v_add_f64 v[38:39], v[4:5], v[16:17]
	v_fmac_f64_e32 v[28:29], -0.5, v[38:39]
	v_fma_f64 v[38:39], s[14:15], v[36:37], v[28:29]
	v_fmac_f64_e32 v[28:29], s[16:17], v[36:37]
	v_fmac_f64_e32 v[38:39], s[18:19], v[20:21]
	;; [unrolled: 1-line block ×3, first 2 shown]
	v_add_f64 v[20:21], v[30:31], v[6:7]
	v_add_f64 v[20:21], v[20:21], v[10:11]
	v_add_f64 v[44:45], v[8:9], -v[4:5]
	v_add_f64 v[46:47], v[12:13], -v[16:17]
	v_add_f64 v[20:21], v[20:21], v[14:15]
	v_add_f64 v[44:45], v[44:45], v[46:47]
	;; [unrolled: 1-line block ×4, first 2 shown]
	v_fma_f64 v[36:37], -0.5, v[20:21], v[30:31]
	v_add_f64 v[4:5], v[4:5], -v[16:17]
	v_fmac_f64_e32 v[38:39], s[2:3], v[44:45]
	v_fmac_f64_e32 v[28:29], s[2:3], v[44:45]
	v_fma_f64 v[44:45], s[14:15], v[4:5], v[36:37]
	v_add_f64 v[8:9], v[8:9], -v[12:13]
	v_add_f64 v[12:13], v[6:7], -v[10:11]
	;; [unrolled: 1-line block ×3, first 2 shown]
	v_fmac_f64_e32 v[36:37], s[16:17], v[4:5]
	v_fmac_f64_e32 v[44:45], s[0:1], v[8:9]
	v_add_f64 v[12:13], v[12:13], v[16:17]
	v_fmac_f64_e32 v[36:37], s[18:19], v[8:9]
	v_fmac_f64_e32 v[44:45], s[2:3], v[12:13]
	;; [unrolled: 1-line block ×3, first 2 shown]
	v_add_f64 v[12:13], v[6:7], v[18:19]
	v_fmac_f64_e32 v[30:31], -0.5, v[12:13]
	v_fma_f64 v[118:119], s[16:17], v[8:9], v[30:31]
	v_add_f64 v[6:7], v[10:11], -v[6:7]
	v_add_f64 v[10:11], v[14:15], -v[18:19]
	v_fmac_f64_e32 v[30:31], s[14:15], v[8:9]
	v_fmac_f64_e32 v[118:119], s[0:1], v[4:5]
	v_add_f64 v[6:7], v[6:7], v[10:11]
	v_fmac_f64_e32 v[30:31], s[18:19], v[4:5]
	v_fmac_f64_e32 v[118:119], s[2:3], v[6:7]
	v_fmac_f64_e32 v[30:31], s[2:3], v[6:7]
	v_mul_f64 v[6:7], v[28:29], s[2:3]
	v_fma_f64 v[144:145], v[30:31], s[16:17], -v[6:7]
	v_mul_f64 v[6:7], v[34:35], s[20:21]
	v_mul_f64 v[120:121], v[22:23], s[20:21]
	v_fma_f64 v[146:147], v[36:37], s[18:19], -v[6:7]
	v_mul_f64 v[148:149], v[22:23], s[0:1]
	v_fmac_f64_e32 v[120:121], s[18:19], v[44:45]
	v_add_f64 v[20:21], v[40:41], v[144:145]
	v_add_f64 v[16:17], v[100:101], v[146:147]
	v_fmac_f64_e32 v[148:149], s[20:21], v[44:45]
	v_add_f64 v[44:45], v[40:41], -v[144:145]
	v_add_f64 v[40:41], v[100:101], -v[146:147]
	v_add_f64 v[100:101], v[64:65], v[84:85]
	v_add_f64 v[100:101], v[100:101], v[88:89]
	v_mul_f64 v[150:151], v[38:39], s[14:15]
	v_mul_f64 v[18:19], v[30:31], s[2:3]
	s_waitcnt lgkmcnt(13)
	v_add_f64 v[100:101], v[100:101], v[92:93]
	v_add_f64 v[12:13], v[102:103], v[32:33]
	;; [unrolled: 1-line block ×3, first 2 shown]
	v_mul_f64 v[122:123], v[118:119], s[16:17]
	v_fmac_f64_e32 v[150:151], s[2:3], v[118:119]
	v_fma_f64 v[118:119], v[28:29], s[14:15], -v[18:19]
	v_mul_f64 v[18:19], v[36:37], s[20:21]
	v_add_f64 v[36:37], v[102:103], -v[32:33]
	v_add_f64 v[32:33], v[104:105], -v[120:121]
	s_waitcnt lgkmcnt(11)
	v_add_f64 v[104:105], v[100:101], v[96:97]
	v_add_f64 v[100:101], v[88:89], v[92:93]
	v_fmac_f64_e32 v[122:123], s[2:3], v[38:39]
	v_fma_f64 v[152:153], v[34:35], s[0:1], -v[18:19]
	v_fma_f64 v[100:101], -0.5, v[100:101], v[64:65]
	v_add_f64 v[102:103], v[86:87], -v[98:99]
	v_add_f64 v[4:5], v[114:115], v[122:123]
	v_add_f64 v[14:15], v[110:111], v[46:47]
	;; [unrolled: 1-line block ×5, first 2 shown]
	v_add_f64 v[28:29], v[114:115], -v[122:123]
	v_add_f64 v[38:39], v[110:111], -v[46:47]
	;; [unrolled: 1-line block ×5, first 2 shown]
	v_fma_f64 v[110:111], s[16:17], v[102:103], v[100:101]
	v_add_f64 v[106:107], v[90:91], -v[94:95]
	v_add_f64 v[112:113], v[84:85], -v[88:89]
	;; [unrolled: 1-line block ×3, first 2 shown]
	v_fmac_f64_e32 v[100:101], s[14:15], v[102:103]
	v_fmac_f64_e32 v[110:111], s[18:19], v[106:107]
	v_add_f64 v[112:113], v[112:113], v[114:115]
	v_fmac_f64_e32 v[100:101], s[0:1], v[106:107]
	v_fmac_f64_e32 v[110:111], s[2:3], v[112:113]
	;; [unrolled: 1-line block ×3, first 2 shown]
	v_add_f64 v[112:113], v[84:85], v[96:97]
	v_fmac_f64_e32 v[64:65], -0.5, v[112:113]
	v_fma_f64 v[112:113], s[14:15], v[106:107], v[64:65]
	v_fmac_f64_e32 v[64:65], s[16:17], v[106:107]
	v_fmac_f64_e32 v[112:113], s[18:19], v[102:103]
	;; [unrolled: 1-line block ×3, first 2 shown]
	v_add_f64 v[102:103], v[66:67], v[86:87]
	v_add_f64 v[102:103], v[102:103], v[90:91]
	;; [unrolled: 1-line block ×4, first 2 shown]
	v_add_f64 v[30:31], v[116:117], -v[150:151]
	v_add_f64 v[114:115], v[88:89], -v[84:85]
	;; [unrolled: 1-line block ×3, first 2 shown]
	v_add_f64 v[106:107], v[102:103], v[98:99]
	v_add_f64 v[102:103], v[90:91], v[94:95]
	;; [unrolled: 1-line block ×3, first 2 shown]
	v_fma_f64 v[102:103], -0.5, v[102:103], v[66:67]
	v_add_f64 v[96:97], v[84:85], -v[96:97]
	v_fmac_f64_e32 v[112:113], s[2:3], v[114:115]
	v_fmac_f64_e32 v[64:65], s[2:3], v[114:115]
	v_fma_f64 v[84:85], s[14:15], v[96:97], v[102:103]
	v_add_f64 v[92:93], v[88:89], -v[92:93]
	v_add_f64 v[88:89], v[86:87], -v[90:91]
	;; [unrolled: 1-line block ×3, first 2 shown]
	v_fmac_f64_e32 v[102:103], s[16:17], v[96:97]
	v_fmac_f64_e32 v[84:85], s[0:1], v[92:93]
	v_add_f64 v[88:89], v[88:89], v[114:115]
	v_fmac_f64_e32 v[102:103], s[18:19], v[92:93]
	v_fmac_f64_e32 v[84:85], s[2:3], v[88:89]
	;; [unrolled: 1-line block ×3, first 2 shown]
	v_add_f64 v[88:89], v[86:87], v[98:99]
	v_add_f64 v[86:87], v[90:91], -v[86:87]
	v_add_f64 v[90:91], v[94:95], -v[98:99]
	v_fmac_f64_e32 v[66:67], -0.5, v[88:89]
	v_add_f64 v[86:87], v[86:87], v[90:91]
	v_add_f64 v[90:91], v[72:73], v[76:77]
	v_fma_f64 v[88:89], s[16:17], v[92:93], v[66:67]
	v_fmac_f64_e32 v[66:67], s[14:15], v[92:93]
	v_fma_f64 v[90:91], -0.5, v[90:91], v[140:141]
	s_waitcnt lgkmcnt(10)
	v_add_f64 v[92:93], v[70:71], -v[82:83]
	v_fmac_f64_e32 v[88:89], s[0:1], v[96:97]
	v_fmac_f64_e32 v[66:67], s[18:19], v[96:97]
	v_fma_f64 v[94:95], s[16:17], v[92:93], v[90:91]
	v_add_f64 v[96:97], v[74:75], -v[78:79]
	v_add_f64 v[98:99], v[68:69], -v[72:73]
	;; [unrolled: 1-line block ×3, first 2 shown]
	v_fmac_f64_e32 v[90:91], s[14:15], v[92:93]
	v_fmac_f64_e32 v[94:95], s[18:19], v[96:97]
	v_add_f64 v[98:99], v[98:99], v[114:115]
	v_fmac_f64_e32 v[90:91], s[0:1], v[96:97]
	v_fmac_f64_e32 v[94:95], s[2:3], v[98:99]
	;; [unrolled: 1-line block ×3, first 2 shown]
	v_add_f64 v[98:99], v[68:69], v[80:81]
	v_fmac_f64_e32 v[88:89], s[2:3], v[86:87]
	v_fmac_f64_e32 v[66:67], s[2:3], v[86:87]
	v_add_f64 v[86:87], v[140:141], v[68:69]
	v_fmac_f64_e32 v[140:141], -0.5, v[98:99]
	v_add_f64 v[86:87], v[86:87], v[72:73]
	v_fma_f64 v[98:99], s[14:15], v[96:97], v[140:141]
	v_add_f64 v[114:115], v[72:73], -v[68:69]
	v_add_f64 v[116:117], v[76:77], -v[80:81]
	v_fmac_f64_e32 v[140:141], s[16:17], v[96:97]
	v_add_f64 v[96:97], v[74:75], v[78:79]
	v_add_f64 v[86:87], v[86:87], v[76:77]
	v_fmac_f64_e32 v[98:99], s[18:19], v[92:93]
	v_add_f64 v[114:115], v[114:115], v[116:117]
	v_fmac_f64_e32 v[140:141], s[0:1], v[92:93]
	v_fma_f64 v[96:97], -0.5, v[96:97], v[142:143]
	v_add_f64 v[68:69], v[68:69], -v[80:81]
	v_add_f64 v[86:87], v[86:87], v[80:81]
	v_fmac_f64_e32 v[98:99], s[2:3], v[114:115]
	v_fmac_f64_e32 v[140:141], s[2:3], v[114:115]
	v_fma_f64 v[114:115], s[14:15], v[68:69], v[96:97]
	v_add_f64 v[72:73], v[72:73], -v[76:77]
	v_add_f64 v[76:77], v[70:71], -v[74:75]
	;; [unrolled: 1-line block ×3, first 2 shown]
	v_fmac_f64_e32 v[96:97], s[16:17], v[68:69]
	v_fmac_f64_e32 v[114:115], s[0:1], v[72:73]
	v_add_f64 v[76:77], v[76:77], v[80:81]
	v_fmac_f64_e32 v[96:97], s[18:19], v[72:73]
	v_fmac_f64_e32 v[114:115], s[2:3], v[76:77]
	;; [unrolled: 1-line block ×3, first 2 shown]
	v_add_f64 v[76:77], v[70:71], v[82:83]
	v_add_f64 v[92:93], v[142:143], v[70:71]
	v_fmac_f64_e32 v[142:143], -0.5, v[76:77]
	v_add_f64 v[92:93], v[92:93], v[74:75]
	v_fma_f64 v[116:117], s[16:17], v[72:73], v[142:143]
	v_add_f64 v[70:71], v[74:75], -v[70:71]
	v_add_f64 v[74:75], v[78:79], -v[82:83]
	v_fmac_f64_e32 v[116:117], s[0:1], v[68:69]
	v_add_f64 v[70:71], v[70:71], v[74:75]
	v_fmac_f64_e32 v[142:143], s[14:15], v[72:73]
	v_fmac_f64_e32 v[116:117], s[2:3], v[70:71]
	;; [unrolled: 1-line block ×3, first 2 shown]
	v_add_f64 v[92:93], v[92:93], v[78:79]
	v_fmac_f64_e32 v[142:143], s[2:3], v[70:71]
	v_mul_f64 v[118:119], v[94:95], s[20:21]
	v_mul_f64 v[146:147], v[116:117], s[16:17]
	;; [unrolled: 1-line block ×3, first 2 shown]
	v_add_f64 v[92:93], v[92:93], v[82:83]
	v_fmac_f64_e32 v[146:147], s[2:3], v[98:99]
	v_fmac_f64_e32 v[94:95], s[20:21], v[114:115]
	v_mul_f64 v[82:83], v[142:143], s[2:3]
	v_fmac_f64_e32 v[118:119], s[18:19], v[114:115]
	v_add_f64 v[68:69], v[112:113], v[146:147]
	v_mul_f64 v[70:71], v[140:141], s[2:3]
	v_add_f64 v[74:75], v[84:85], v[94:95]
	v_fma_f64 v[114:115], v[140:141], s[14:15], -v[82:83]
	v_add_f64 v[140:141], v[112:113], -v[146:147]
	v_add_f64 v[146:147], v[84:85], -v[94:95]
	s_waitcnt lgkmcnt(7)
	v_add_f64 v[84:85], v[24:25], v[124:125]
	s_waitcnt lgkmcnt(5)
	v_add_f64 v[84:85], v[84:85], v[128:129]
	v_fma_f64 v[150:151], v[142:143], s[16:17], -v[70:71]
	s_waitcnt lgkmcnt(3)
	v_add_f64 v[84:85], v[84:85], v[132:133]
	v_add_f64 v[120:121], v[64:65], v[150:151]
	v_mul_f64 v[70:71], v[90:91], s[20:21]
	v_add_f64 v[78:79], v[106:107], v[92:93]
	v_mul_f64 v[98:99], v[98:99], s[14:15]
	v_mul_f64 v[82:83], v[96:97], s[20:21]
	v_add_f64 v[152:153], v[64:65], -v[150:151]
	v_add_f64 v[150:151], v[106:107], -v[92:93]
	s_waitcnt lgkmcnt(1)
	v_add_f64 v[106:107], v[84:85], v[136:137]
	v_add_f64 v[84:85], v[128:129], v[132:133]
	;; [unrolled: 1-line block ×3, first 2 shown]
	v_fma_f64 v[154:155], v[96:97], s[18:19], -v[70:71]
	v_fmac_f64_e32 v[98:99], s[2:3], v[116:117]
	v_fma_f64 v[90:91], v[90:91], s[0:1], -v[82:83]
	v_add_f64 v[148:149], v[104:105], -v[86:87]
	v_fma_f64 v[104:105], -0.5, v[84:85], v[24:25]
	v_add_f64 v[84:85], v[126:127], -v[138:139]
	v_add_f64 v[80:81], v[100:101], v[154:155]
	v_add_f64 v[70:71], v[88:89], v[98:99]
	;; [unrolled: 1-line block ×4, first 2 shown]
	v_add_f64 v[64:65], v[100:101], -v[154:155]
	v_add_f64 v[142:143], v[88:89], -v[98:99]
	;; [unrolled: 1-line block ×4, first 2 shown]
	v_fma_f64 v[112:113], s[16:17], v[84:85], v[104:105]
	v_add_f64 v[86:87], v[130:131], -v[134:135]
	v_add_f64 v[88:89], v[124:125], -v[128:129]
	;; [unrolled: 1-line block ×3, first 2 shown]
	v_fmac_f64_e32 v[104:105], s[14:15], v[84:85]
	v_fmac_f64_e32 v[112:113], s[18:19], v[86:87]
	v_add_f64 v[88:89], v[88:89], v[90:91]
	v_fmac_f64_e32 v[104:105], s[0:1], v[86:87]
	v_fmac_f64_e32 v[112:113], s[2:3], v[88:89]
	;; [unrolled: 1-line block ×3, first 2 shown]
	v_add_f64 v[88:89], v[124:125], v[136:137]
	v_fmac_f64_e32 v[24:25], -0.5, v[88:89]
	v_fma_f64 v[116:117], s[14:15], v[86:87], v[24:25]
	v_fmac_f64_e32 v[24:25], s[16:17], v[86:87]
	v_fmac_f64_e32 v[116:117], s[18:19], v[84:85]
	;; [unrolled: 1-line block ×3, first 2 shown]
	v_add_f64 v[84:85], v[26:27], v[126:127]
	v_add_f64 v[84:85], v[84:85], v[130:131]
	;; [unrolled: 1-line block ×4, first 2 shown]
	v_add_f64 v[144:145], v[110:111], -v[118:119]
	v_add_f64 v[88:89], v[128:129], -v[124:125]
	v_add_f64 v[90:91], v[132:133], -v[136:137]
	v_add_f64 v[110:111], v[84:85], v[138:139]
	v_add_f64 v[84:85], v[130:131], v[134:135]
	;; [unrolled: 1-line block ×3, first 2 shown]
	v_fma_f64 v[100:101], -0.5, v[84:85], v[26:27]
	v_add_f64 v[84:85], v[124:125], -v[136:137]
	v_fmac_f64_e32 v[116:117], s[2:3], v[88:89]
	v_fmac_f64_e32 v[24:25], s[2:3], v[88:89]
	v_fma_f64 v[114:115], s[14:15], v[84:85], v[100:101]
	v_add_f64 v[86:87], v[128:129], -v[132:133]
	v_add_f64 v[88:89], v[126:127], -v[130:131]
	;; [unrolled: 1-line block ×3, first 2 shown]
	v_fmac_f64_e32 v[100:101], s[16:17], v[84:85]
	v_fmac_f64_e32 v[114:115], s[0:1], v[86:87]
	v_add_f64 v[88:89], v[88:89], v[90:91]
	v_fmac_f64_e32 v[100:101], s[18:19], v[86:87]
	v_fmac_f64_e32 v[114:115], s[2:3], v[88:89]
	;; [unrolled: 1-line block ×3, first 2 shown]
	v_add_f64 v[88:89], v[126:127], v[138:139]
	v_fmac_f64_e32 v[26:27], -0.5, v[88:89]
	v_fma_f64 v[118:119], s[16:17], v[86:87], v[26:27]
	v_fmac_f64_e32 v[26:27], s[14:15], v[86:87]
	v_fmac_f64_e32 v[118:119], s[0:1], v[84:85]
	;; [unrolled: 1-line block ×3, first 2 shown]
	v_add_f64 v[84:85], v[48:49], v[0:1]
	v_add_f64 v[84:85], v[84:85], v[52:53]
	;; [unrolled: 1-line block ×3, first 2 shown]
	v_add_f64 v[88:89], v[130:131], -v[126:127]
	v_add_f64 v[90:91], v[134:135], -v[138:139]
	s_waitcnt lgkmcnt(0)
	v_add_f64 v[124:125], v[84:85], v[60:61]
	v_add_f64 v[84:85], v[52:53], v[56:57]
	;; [unrolled: 1-line block ×3, first 2 shown]
	v_fma_f64 v[102:103], -0.5, v[84:85], v[48:49]
	v_add_f64 v[84:85], v[2:3], -v[62:63]
	v_fmac_f64_e32 v[118:119], s[2:3], v[88:89]
	v_fmac_f64_e32 v[26:27], s[2:3], v[88:89]
	v_fma_f64 v[86:87], s[16:17], v[84:85], v[102:103]
	v_add_f64 v[88:89], v[54:55], -v[58:59]
	v_add_f64 v[90:91], v[0:1], -v[52:53]
	;; [unrolled: 1-line block ×3, first 2 shown]
	v_fmac_f64_e32 v[102:103], s[14:15], v[84:85]
	v_fmac_f64_e32 v[86:87], s[18:19], v[88:89]
	v_add_f64 v[90:91], v[90:91], v[92:93]
	v_fmac_f64_e32 v[102:103], s[0:1], v[88:89]
	v_fmac_f64_e32 v[86:87], s[2:3], v[90:91]
	;; [unrolled: 1-line block ×3, first 2 shown]
	v_add_f64 v[90:91], v[0:1], v[60:61]
	v_fmac_f64_e32 v[48:49], -0.5, v[90:91]
	v_fma_f64 v[98:99], s[14:15], v[88:89], v[48:49]
	v_fmac_f64_e32 v[48:49], s[16:17], v[88:89]
	v_fmac_f64_e32 v[98:99], s[18:19], v[84:85]
	v_fmac_f64_e32 v[48:49], s[0:1], v[84:85]
	v_add_f64 v[84:85], v[50:51], v[2:3]
	v_add_f64 v[84:85], v[84:85], v[54:55]
	;; [unrolled: 1-line block ×5, first 2 shown]
	v_add_f64 v[90:91], v[52:53], -v[0:1]
	v_fma_f64 v[128:129], -0.5, v[84:85], v[50:51]
	v_add_f64 v[0:1], v[0:1], -v[60:61]
	v_add_f64 v[92:93], v[56:57], -v[60:61]
	v_fma_f64 v[60:61], s[14:15], v[0:1], v[128:129]
	v_add_f64 v[52:53], v[52:53], -v[56:57]
	v_add_f64 v[56:57], v[2:3], -v[54:55]
	;; [unrolled: 1-line block ×3, first 2 shown]
	v_fmac_f64_e32 v[128:129], s[16:17], v[0:1]
	v_fmac_f64_e32 v[60:61], s[0:1], v[52:53]
	v_add_f64 v[56:57], v[56:57], v[84:85]
	v_fmac_f64_e32 v[128:129], s[18:19], v[52:53]
	v_fmac_f64_e32 v[60:61], s[2:3], v[56:57]
	;; [unrolled: 1-line block ×3, first 2 shown]
	v_add_f64 v[56:57], v[2:3], v[62:63]
	v_fmac_f64_e32 v[50:51], -0.5, v[56:57]
	v_fma_f64 v[56:57], s[16:17], v[52:53], v[50:51]
	v_add_f64 v[2:3], v[54:55], -v[2:3]
	v_add_f64 v[54:55], v[58:59], -v[62:63]
	v_fmac_f64_e32 v[50:51], s[14:15], v[52:53]
	v_add_f64 v[90:91], v[90:91], v[92:93]
	v_add_f64 v[2:3], v[2:3], v[54:55]
	v_fmac_f64_e32 v[50:51], s[18:19], v[0:1]
	v_fmac_f64_e32 v[48:49], s[2:3], v[90:91]
	;; [unrolled: 1-line block ×5, first 2 shown]
	v_mul_f64 v[0:1], v[48:49], s[2:3]
	v_mul_f64 v[2:3], v[50:51], s[2:3]
	v_fma_f64 v[58:59], v[50:51], s[16:17], -v[0:1]
	v_mul_f64 v[0:1], v[102:103], s[20:21]
	v_fma_f64 v[134:135], v[48:49], s[14:15], -v[2:3]
	v_mul_f64 v[2:3], v[128:129], s[20:21]
	v_fmac_f64_e32 v[98:99], s[2:3], v[90:91]
	v_mul_f64 v[52:53], v[86:87], s[20:21]
	v_mul_f64 v[54:55], v[56:57], s[16:17]
	v_fma_f64 v[62:63], v[128:129], s[18:19], -v[0:1]
	v_mul_f64 v[130:131], v[86:87], s[0:1]
	v_fma_f64 v[102:103], v[102:103], s[0:1], -v[2:3]
	v_fmac_f64_e32 v[52:53], s[18:19], v[60:61]
	v_fmac_f64_e32 v[54:55], s[2:3], v[98:99]
	v_add_f64 v[96:97], v[24:25], v[58:59]
	v_add_f64 v[0:1], v[104:105], v[62:63]
	v_fmac_f64_e32 v[130:131], s[20:21], v[60:61]
	v_mul_f64 v[132:133], v[98:99], s[14:15]
	v_add_f64 v[98:99], v[26:27], v[134:135]
	v_add_f64 v[2:3], v[100:101], v[102:103]
	v_add_f64 v[60:61], v[24:25], -v[58:59]
	v_add_f64 v[24:25], v[104:105], -v[62:63]
	;; [unrolled: 1-line block ×4, first 2 shown]
	v_mul_u32_u24_e32 v100, 10, v158
	v_add_lshl_u32 v226, v159, v100, 4
	s_waitcnt lgkmcnt(0)
	; wave barrier
	ds_write_b128 v226, v[12:15]
	ds_write_b128 v226, v[8:11] offset:16
	ds_write_b128 v226, v[4:7] offset:32
	;; [unrolled: 1-line block ×9, first 2 shown]
	v_mul_u32_u24_e32 v4, 10, v156
	v_fmac_f64_e32 v[132:133], s[2:3], v[56:57]
	v_add_lshl_u32 v225, v159, v4, 4
	v_mul_u32_u24_e32 v4, 10, v157
	v_add_f64 v[92:93], v[106:107], v[124:125]
	v_add_f64 v[88:89], v[112:113], v[52:53]
	;; [unrolled: 1-line block ×6, first 2 shown]
	v_add_lshl_u32 v228, v159, v4, 4
	v_add_f64 v[48:49], v[106:107], -v[124:125]
	v_add_f64 v[52:53], v[112:113], -v[52:53]
	;; [unrolled: 1-line block ×6, first 2 shown]
	ds_write_b128 v225, v[76:79]
	ds_write_b128 v225, v[72:75] offset:16
	ds_write_b128 v225, v[68:71] offset:32
	;; [unrolled: 1-line block ×9, first 2 shown]
	ds_write_b128 v228, v[92:95]
	ds_write_b128 v228, v[88:91] offset:16
	ds_write_b128 v228, v[84:87] offset:32
	;; [unrolled: 1-line block ×9, first 2 shown]
	s_waitcnt lgkmcnt(0)
	; wave barrier
	s_waitcnt lgkmcnt(0)
	ds_read_b128 v[12:15], v230
	ds_read_b128 v[160:163], v224 offset:960
	ds_read_b128 v[140:143], v224 offset:1920
	;; [unrolled: 1-line block ×23, first 2 shown]
	s_and_saveexec_b64 s[0:1], vcc
	s_cbranch_execz .LBB0_3
; %bb.2:
	ds_read_b128 v[0:3], v224 offset:768
	ds_read_b128 v[48:51], v224 offset:1728
	;; [unrolled: 1-line block ×8, first 2 shown]
.LBB0_3:
	s_or_b64 exec, exec, s[0:1]
	v_add_u32_e32 v109, -10, v158
	v_cmp_gt_u32_e64 s[0:1], 10, v158
	v_cndmask_b32_e64 v132, v109, v158, s[0:1]
	v_mul_i32_i24_e32 v110, 0x70, v132
	v_mul_hi_i32_i24_e32 v109, 0x70, v132
	v_mov_b32_e32 v111, s11
	v_add_co_u32_e64 v110, s[0:1], s10, v110
	v_addc_co_u32_e64 v111, s[0:1], v111, v109, s[0:1]
	global_load_dwordx4 v[124:127], v[110:111], off
	global_load_dwordx4 v[172:175], v[110:111], off offset:16
	global_load_dwordx4 v[116:119], v[110:111], off offset:32
	;; [unrolled: 1-line block ×4, first 2 shown]
	v_mul_lo_u16_e32 v159, 26, v156
	v_mov_b32_e32 v109, 10
	global_load_dwordx4 v[180:183], v[110:111], off offset:80
	global_load_dwordx4 v[184:187], v[110:111], off offset:96
	v_mul_lo_u16_sdwa v114, v159, v109 dst_sel:DWORD dst_unused:UNUSED_PAD src0_sel:BYTE_1 src1_sel:DWORD
	v_sub_u16_e32 v156, v156, v114
	s_movk_i32 s0, 0x70
	v_pk_mov_b32 v[112:113], s[10:11], s[10:11] op_sel:[0,1]
	v_and_b32_e32 v110, 0xff, v156
	v_mad_u64_u32 v[110:111], s[2:3], v110, s0, v[112:113]
	v_mul_lo_u16_e32 v231, 26, v157
	global_load_dwordx4 v[204:207], v[110:111], off
	global_load_dwordx4 v[196:199], v[110:111], off offset:16
	global_load_dwordx4 v[192:195], v[110:111], off offset:32
	;; [unrolled: 1-line block ×5, first 2 shown]
	v_mul_lo_u16_sdwa v114, v231, v109 dst_sel:DWORD dst_unused:UNUSED_PAD src0_sel:BYTE_1 src1_sel:DWORD
	v_sub_u16_e32 v114, v157, v114
	global_load_dwordx4 v[216:219], v[110:111], off offset:96
	v_and_b32_e32 v157, 0xff, v114
	v_mad_u64_u32 v[110:111], s[2:3], v157, s0, v[112:113]
	global_load_dwordx4 v[244:247], v[110:111], off
	global_load_dwordx4 v[240:243], v[110:111], off offset:16
	global_load_dwordx4 v[220:223], v[110:111], off offset:32
	;; [unrolled: 1-line block ×4, first 2 shown]
	v_mul_lo_u16_e32 v114, 26, v108
	v_mul_lo_u16_sdwa v109, v114, v109 dst_sel:DWORD dst_unused:UNUSED_PAD src0_sel:BYTE_1 src1_sel:DWORD
	v_sub_u16_e32 v108, v108, v109
	v_and_b32_e32 v108, 0xff, v108
	v_mad_u64_u32 v[112:113], s[0:1], v108, s0, v[112:113]
	global_load_dwordx4 v[248:251], v[110:111], off offset:80
	global_load_dwordx4 v[152:155], v[112:113], off offset:32
	;; [unrolled: 1-line block ×4, first 2 shown]
	global_load_dwordx4 v[164:167], v[112:113], off
	global_load_dwordx4 v[168:171], v[112:113], off offset:48
	v_accvgpr_write_b32 a138, v108
	v_accvgpr_write_b32 a137, v114
	v_cmp_lt_u32_e64 s[0:1], 9, v158
	v_mov_b32_e32 v133, 0x50
	v_cndmask_b32_e64 v133, 0, v133, s[0:1]
	v_or_b32_e32 v132, v132, v133
	s_mov_b32 s0, 0x667f3bcd
	s_mov_b32 s1, 0xbfe6a09e
	;; [unrolled: 1-line block ×4, first 2 shown]
	s_movk_i32 s16, 0x50
	s_waitcnt vmcnt(24) lgkmcnt(14)
	v_mul_f64 v[108:109], v[162:163], v[126:127]
	v_fma_f64 v[122:123], v[160:161], v[124:125], -v[108:109]
	s_waitcnt vmcnt(22)
	v_mul_f64 v[108:109], v[138:139], v[118:119]
	v_mul_f64 v[120:121], v[160:161], v[126:127]
	v_mul_f64 v[110:111], v[142:143], v[174:175]
	v_accvgpr_write_b32 a179, v127
	v_mul_f64 v[134:135], v[136:137], v[118:119]
	v_fma_f64 v[136:137], v[136:137], v[116:117], -v[108:109]
	v_accvgpr_write_b32 a171, v119
	s_waitcnt vmcnt(20)
	v_mul_f64 v[108:109], v[102:103], v[178:179]
	v_accvgpr_write_b32 a178, v126
	v_accvgpr_write_b32 a177, v125
	;; [unrolled: 1-line block ×3, first 2 shown]
	v_fmac_f64_e32 v[120:121], v[162:163], v[124:125]
	v_mul_f64 v[114:115], v[140:141], v[174:175]
	v_fma_f64 v[124:125], v[140:141], v[172:173], -v[110:111]
	v_mul_f64 v[110:111], v[106:107], v[146:147]
	v_accvgpr_write_b32 a170, v118
	v_accvgpr_write_b32 a169, v117
	;; [unrolled: 1-line block ×3, first 2 shown]
	v_fmac_f64_e32 v[134:135], v[138:139], v[116:117]
	v_mul_f64 v[116:117], v[104:105], v[146:147]
	v_accvgpr_write_b32 a167, v147
	v_mul_f64 v[126:127], v[100:101], v[178:179]
	v_fma_f64 v[138:139], v[100:101], v[176:177], -v[108:109]
	s_waitcnt vmcnt(19)
	v_mul_f64 v[140:141], v[92:93], v[182:183]
	s_waitcnt vmcnt(18)
	v_mul_f64 v[100:101], v[78:79], v[186:187]
	v_fma_f64 v[118:119], v[104:105], v[144:145], -v[110:111]
	v_accvgpr_write_b32 a166, v146
	v_accvgpr_write_b32 a165, v145
	;; [unrolled: 1-line block ×3, first 2 shown]
	v_fmac_f64_e32 v[116:117], v[106:107], v[144:145]
	v_mul_f64 v[104:105], v[94:95], v[182:183]
	v_fmac_f64_e32 v[140:141], v[94:95], v[180:181]
	v_mul_f64 v[144:145], v[76:77], v[186:187]
	s_waitcnt vmcnt(17)
	v_mul_f64 v[94:95], v[98:99], v[206:207]
	v_fma_f64 v[146:147], v[76:77], v[184:185], -v[100:101]
	s_waitcnt vmcnt(16) lgkmcnt(13)
	v_mul_f64 v[76:77], v[90:91], v[198:199]
	v_fmac_f64_e32 v[114:115], v[142:143], v[172:173]
	v_fma_f64 v[142:143], v[92:93], v[180:181], -v[104:105]
	v_mul_f64 v[92:93], v[96:97], v[206:207]
	v_fma_f64 v[94:95], v[96:97], v[204:205], -v[94:95]
	v_fma_f64 v[96:97], v[88:89], v[196:197], -v[76:77]
	s_waitcnt vmcnt(15) lgkmcnt(12)
	v_mul_f64 v[76:77], v[86:87], v[194:195]
	v_fmac_f64_e32 v[92:93], v[98:99], v[204:205]
	v_mul_f64 v[98:99], v[88:89], v[198:199]
	v_fma_f64 v[88:89], v[84:85], v[192:193], -v[76:77]
	s_waitcnt vmcnt(14) lgkmcnt(11)
	v_mul_f64 v[76:77], v[82:83], v[190:191]
	v_mul_f64 v[84:85], v[84:85], v[194:195]
	v_fma_f64 v[100:101], v[80:81], v[188:189], -v[76:77]
	s_waitcnt vmcnt(13) lgkmcnt(10)
	v_mul_f64 v[76:77], v[74:75], v[214:215]
	v_fmac_f64_e32 v[98:99], v[90:91], v[196:197]
	v_fmac_f64_e32 v[84:85], v[86:87], v[192:193]
	v_fma_f64 v[86:87], v[72:73], v[212:213], -v[76:77]
	v_mul_f64 v[90:91], v[72:73], v[214:215]
	s_waitcnt vmcnt(12) lgkmcnt(9)
	v_mul_f64 v[72:73], v[70:71], v[210:211]
	v_fma_f64 v[108:109], v[68:69], v[208:209], -v[72:73]
	v_mul_f64 v[110:111], v[68:69], v[210:211]
	s_waitcnt vmcnt(11) lgkmcnt(8)
	v_mul_f64 v[68:69], v[46:47], v[218:219]
	;; [unrolled: 4-line block ×3, first 2 shown]
	v_fmac_f64_e32 v[106:107], v[46:47], v[216:217]
	v_fma_f64 v[44:45], v[64:65], v[244:245], -v[44:45]
	v_mul_f64 v[46:47], v[64:65], v[246:247]
	s_waitcnt vmcnt(9) lgkmcnt(5)
	v_mul_f64 v[64:65], v[42:43], v[242:243]
	v_fmac_f64_e32 v[46:47], v[66:67], v[244:245]
	v_fma_f64 v[64:65], v[40:41], v[240:241], -v[64:65]
	v_mul_f64 v[66:67], v[40:41], v[242:243]
	s_waitcnt vmcnt(8) lgkmcnt(4)
	v_mul_f64 v[40:41], v[38:39], v[222:223]
	;; [unrolled: 5-line block ×4, first 2 shown]
	v_fmac_f64_e32 v[126:127], v[102:103], v[176:177]
	v_mul_f64 v[102:103], v[80:81], v[190:191]
	v_fmac_f64_e32 v[110:111], v[70:71], v[208:209]
	v_fma_f64 v[68:69], v[28:29], v[200:201], -v[32:33]
	v_mul_f64 v[70:71], v[28:29], v[202:203]
	s_waitcnt vmcnt(5) lgkmcnt(1)
	v_mul_f64 v[28:29], v[22:23], v[250:251]
	v_fmac_f64_e32 v[102:103], v[82:83], v[188:189]
	v_fma_f64 v[80:81], v[20:21], v[248:249], -v[28:29]
	v_mul_f64 v[82:83], v[20:21], v[250:251]
	s_waitcnt vmcnt(2) lgkmcnt(0)
	v_mul_f64 v[20:21], v[18:19], v[130:131]
	v_fmac_f64_e32 v[144:145], v[78:79], v[184:185]
	v_fma_f64 v[76:77], v[16:17], v[128:129], -v[20:21]
	v_mul_f64 v[78:79], v[16:17], v[130:131]
	s_waitcnt vmcnt(1)
	v_mul_f64 v[16:17], v[50:51], v[166:167]
	v_fmac_f64_e32 v[82:83], v[22:23], v[248:249]
	v_fma_f64 v[20:21], v[48:49], v[164:165], -v[16:17]
	v_mul_f64 v[22:23], v[48:49], v[166:167]
	v_mul_f64 v[16:17], v[54:55], v[150:151]
	v_fmac_f64_e32 v[74:75], v[34:35], v[252:253]
	v_fmac_f64_e32 v[70:71], v[30:31], v[200:201]
	;; [unrolled: 1-line block ×3, first 2 shown]
	v_fma_f64 v[32:33], v[52:53], v[148:149], -v[16:17]
	v_mul_f64 v[34:35], v[52:53], v[150:151]
	v_mul_f64 v[16:17], v[58:59], v[154:155]
	;; [unrolled: 1-line block ×3, first 2 shown]
	global_load_dwordx4 v[50:53], v[112:113], off offset:64
	v_fma_f64 v[28:29], v[56:57], v[152:153], -v[16:17]
	v_fmac_f64_e32 v[30:31], v[58:59], v[152:153]
	global_load_dwordx4 v[56:59], v[112:113], off offset:80
	s_waitcnt vmcnt(2)
	v_mul_f64 v[16:17], v[62:63], v[170:171]
	v_fma_f64 v[36:37], v[60:61], v[168:169], -v[16:17]
	v_fmac_f64_e32 v[34:35], v[54:55], v[148:149]
	v_fmac_f64_e32 v[42:43], v[38:39], v[220:221]
	v_mul_f64 v[38:39], v[60:61], v[170:171]
	v_add_f64 v[60:61], v[12:13], -v[118:119]
	v_add_f64 v[118:119], v[114:115], -v[140:141]
	v_fmac_f64_e32 v[78:79], v[18:19], v[128:129]
	v_fmac_f64_e32 v[38:39], v[62:63], v[168:169]
	v_add_f64 v[62:63], v[14:15], -v[116:117]
	v_add_f64 v[116:117], v[124:125], -v[142:143]
	v_fma_f64 v[18:19], v[114:115], 2.0, -v[118:119]
	v_add_f64 v[114:115], v[120:121], -v[126:127]
	v_add_f64 v[126:127], v[134:135], -v[144:145]
	v_fma_f64 v[12:13], v[12:13], 2.0, -v[60:61]
	v_fma_f64 v[14:15], v[14:15], 2.0, -v[62:63]
	;; [unrolled: 1-line block ×3, first 2 shown]
	v_accvgpr_write_b32 a251, v131
	v_accvgpr_write_b32 a250, v130
	;; [unrolled: 1-line block ×4, first 2 shown]
	v_add_f64 v[68:69], v[44:45], -v[68:69]
	v_add_f64 v[70:71], v[46:47], -v[70:71]
	v_fma_f64 v[44:45], v[44:45], 2.0, -v[68:69]
	v_fma_f64 v[46:47], v[46:47], 2.0, -v[70:71]
	v_accvgpr_write_b32 a228, v240
	v_accvgpr_write_b32 a172, v172
	;; [unrolled: 1-line block ×51, first 2 shown]
	s_waitcnt vmcnt(1)
	v_mul_f64 v[16:17], v[26:27], v[52:53]
	v_fma_f64 v[48:49], v[24:25], v[50:51], -v[16:17]
	v_accvgpr_write_b32 a159, v53
	s_waitcnt vmcnt(0)
	v_mul_f64 v[16:17], v[234:235], v[58:59]
	v_mul_f64 v[54:55], v[232:233], v[58:59]
	v_accvgpr_write_b32 a163, v59
	v_mul_f64 v[24:25], v[24:25], v[52:53]
	v_accvgpr_write_b32 a158, v52
	v_accvgpr_write_b32 a157, v51
	;; [unrolled: 1-line block ×3, first 2 shown]
	v_fma_f64 v[52:53], v[232:233], v[56:57], -v[16:17]
	v_accvgpr_write_b32 a162, v58
	v_accvgpr_write_b32 a161, v57
	;; [unrolled: 1-line block ×3, first 2 shown]
	v_fmac_f64_e32 v[54:55], v[234:235], v[56:57]
	global_load_dwordx4 v[56:59], v[112:113], off offset:96
	v_add_f64 v[112:113], v[122:123], -v[138:139]
	v_fma_f64 v[138:139], v[122:123], 2.0, -v[112:113]
	v_add_f64 v[122:123], v[136:137], -v[146:147]
	v_fmac_f64_e32 v[24:25], v[26:27], v[50:51]
	v_fma_f64 v[120:121], v[136:137], 2.0, -v[122:123]
	v_add_f64 v[120:121], v[138:139], -v[120:121]
	s_waitcnt lgkmcnt(0)
	; wave barrier
	v_add_f64 v[24:25], v[22:23], -v[24:25]
	v_accvgpr_write_b32 a214, v210
	v_accvgpr_write_b32 a213, v209
	;; [unrolled: 1-line block ×33, first 2 shown]
	s_waitcnt vmcnt(0)
	v_mul_f64 v[16:17], v[238:239], v[58:59]
	v_fma_f64 v[26:27], v[236:237], v[56:57], -v[16:17]
	v_mul_f64 v[50:51], v[236:237], v[58:59]
	v_accvgpr_write_b32 a183, v59
	v_fma_f64 v[16:17], v[124:125], 2.0, -v[116:117]
	v_fma_f64 v[124:125], v[134:135], 2.0, -v[126:127]
	v_accvgpr_write_b32 a182, v58
	v_accvgpr_write_b32 a181, v57
	;; [unrolled: 1-line block ×3, first 2 shown]
	v_fmac_f64_e32 v[50:51], v[238:239], v[56:57]
	v_add_f64 v[56:57], v[12:13], -v[16:17]
	v_add_f64 v[58:59], v[14:15], -v[18:19]
	;; [unrolled: 1-line block ×3, first 2 shown]
	v_fma_f64 v[16:17], v[12:13], 2.0, -v[56:57]
	v_fma_f64 v[18:19], v[14:15], 2.0, -v[58:59]
	;; [unrolled: 1-line block ×4, first 2 shown]
	v_add_f64 v[12:13], v[16:17], -v[12:13]
	v_add_f64 v[14:15], v[18:19], -v[14:15]
	v_accvgpr_read_b32 v140, a45
	v_fma_f64 v[16:17], v[16:17], 2.0, -v[12:13]
	v_fma_f64 v[18:19], v[18:19], 2.0, -v[14:15]
	v_add_lshl_u32 v128, v140, v132, 4
	ds_write_b128 v128, v[16:19]
	v_add_f64 v[18:19], v[62:63], v[116:117]
	v_add_f64 v[132:133], v[114:115], v[122:123]
	v_add_f64 v[16:17], v[60:61], -v[118:119]
	v_fma_f64 v[118:119], v[62:63], 2.0, -v[18:19]
	v_add_f64 v[126:127], v[112:113], -v[126:127]
	v_fma_f64 v[114:115], v[114:115], 2.0, -v[132:133]
	v_fma_f64 v[116:117], v[60:61], 2.0, -v[16:17]
	v_fma_f64 v[112:113], v[112:113], 2.0, -v[126:127]
	v_fma_f64 v[62:63], s[0:1], v[114:115], v[118:119]
	v_fma_f64 v[60:61], s[0:1], v[112:113], v[116:117]
	v_fmac_f64_e32 v[62:63], s[2:3], v[112:113]
	v_fmac_f64_e32 v[60:61], s[0:1], v[114:115]
	v_fma_f64 v[114:115], v[118:119], 2.0, -v[62:63]
	v_add_f64 v[118:119], v[58:59], v[120:121]
	v_fma_f64 v[120:121], s[2:3], v[126:127], v[16:17]
	v_fma_f64 v[122:123], s[2:3], v[132:133], v[18:19]
	v_fmac_f64_e32 v[120:121], s[0:1], v[132:133]
	v_fmac_f64_e32 v[122:123], s[2:3], v[126:127]
	v_fma_f64 v[112:113], v[116:117], 2.0, -v[60:61]
	v_add_f64 v[116:117], v[56:57], -v[124:125]
	v_fma_f64 v[124:125], v[16:17], 2.0, -v[120:121]
	v_fma_f64 v[126:127], v[18:19], 2.0, -v[122:123]
	v_add_f64 v[16:17], v[8:9], -v[100:101]
	v_add_f64 v[18:19], v[10:11], -v[102:103]
	;; [unrolled: 1-line block ×6, first 2 shown]
	v_fma_f64 v[86:87], v[94:95], 2.0, -v[108:109]
	v_fma_f64 v[90:91], v[92:93], 2.0, -v[110:111]
	v_add_f64 v[92:93], v[88:89], -v[104:105]
	v_add_f64 v[94:95], v[84:85], -v[106:107]
	v_fma_f64 v[8:9], v[8:9], 2.0, -v[16:17]
	v_fma_f64 v[10:11], v[10:11], 2.0, -v[18:19]
	;; [unrolled: 1-line block ×6, first 2 shown]
	v_add_f64 v[104:105], v[8:9], -v[96:97]
	v_add_f64 v[106:107], v[10:11], -v[98:99]
	;; [unrolled: 1-line block ×4, first 2 shown]
	v_fma_f64 v[8:9], v[8:9], 2.0, -v[104:105]
	v_fma_f64 v[10:11], v[10:11], 2.0, -v[106:107]
	;; [unrolled: 1-line block ×4, first 2 shown]
	v_add_f64 v[84:85], v[8:9], -v[84:85]
	v_add_f64 v[86:87], v[10:11], -v[86:87]
	v_fma_f64 v[88:89], v[8:9], 2.0, -v[84:85]
	v_fma_f64 v[90:91], v[10:11], 2.0, -v[86:87]
	v_add_f64 v[8:9], v[16:17], -v[102:103]
	v_add_f64 v[10:11], v[18:19], v[100:101]
	v_add_f64 v[136:137], v[108:109], -v[94:95]
	v_add_f64 v[138:139], v[110:111], v[92:93]
	v_fma_f64 v[16:17], v[16:17], 2.0, -v[8:9]
	v_fma_f64 v[18:19], v[18:19], 2.0, -v[10:11]
	;; [unrolled: 1-line block ×4, first 2 shown]
	v_fma_f64 v[92:93], s[0:1], v[96:97], v[16:17]
	v_fma_f64 v[94:95], s[0:1], v[98:99], v[18:19]
	;; [unrolled: 1-line block ×4, first 2 shown]
	v_fmac_f64_e32 v[92:93], s[0:1], v[98:99]
	v_fmac_f64_e32 v[94:95], s[2:3], v[96:97]
	;; [unrolled: 1-line block ×4, first 2 shown]
	v_fma_f64 v[96:97], v[16:17], 2.0, -v[92:93]
	v_fma_f64 v[98:99], v[18:19], 2.0, -v[94:95]
	v_add_f64 v[100:101], v[104:105], -v[134:135]
	v_add_f64 v[102:103], v[106:107], v[132:133]
	v_fma_f64 v[132:133], v[8:9], 2.0, -v[108:109]
	v_fma_f64 v[134:135], v[10:11], 2.0, -v[110:111]
	v_add_f64 v[8:9], v[4:5], -v[72:73]
	v_add_f64 v[10:11], v[6:7], -v[74:75]
	v_add_f64 v[16:17], v[64:65], -v[80:81]
	v_add_f64 v[18:19], v[66:67], -v[82:83]
	v_add_f64 v[72:73], v[40:41], -v[76:77]
	v_add_f64 v[74:75], v[42:43], -v[78:79]
	v_fma_f64 v[4:5], v[4:5], 2.0, -v[8:9]
	v_fma_f64 v[6:7], v[6:7], 2.0, -v[10:11]
	;; [unrolled: 1-line block ×6, first 2 shown]
	v_add_f64 v[76:77], v[4:5], -v[64:65]
	v_add_f64 v[78:79], v[6:7], -v[66:67]
	;; [unrolled: 1-line block ×4, first 2 shown]
	v_fma_f64 v[4:5], v[4:5], 2.0, -v[76:77]
	v_fma_f64 v[6:7], v[6:7], 2.0, -v[78:79]
	;; [unrolled: 1-line block ×4, first 2 shown]
	v_add_f64 v[40:41], v[4:5], -v[40:41]
	v_add_f64 v[42:43], v[6:7], -v[42:43]
	v_fma_f64 v[44:45], v[4:5], 2.0, -v[40:41]
	v_fma_f64 v[46:47], v[6:7], 2.0, -v[42:43]
	v_add_f64 v[4:5], v[8:9], -v[18:19]
	v_add_f64 v[6:7], v[10:11], v[16:17]
	v_add_f64 v[16:17], v[68:69], -v[74:75]
	v_fma_f64 v[8:9], v[8:9], 2.0, -v[4:5]
	v_add_f64 v[18:19], v[70:71], v[72:73]
	v_fma_f64 v[68:69], v[68:69], 2.0, -v[16:17]
	v_fma_f64 v[10:11], v[10:11], 2.0, -v[6:7]
	;; [unrolled: 1-line block ×3, first 2 shown]
	v_fma_f64 v[64:65], s[0:1], v[68:69], v[8:9]
	v_fma_f64 v[56:57], v[56:57], 2.0, -v[116:117]
	v_fma_f64 v[58:59], v[58:59], 2.0, -v[118:119]
	v_fma_f64 v[66:67], s[0:1], v[70:71], v[10:11]
	v_fmac_f64_e32 v[64:65], s[0:1], v[70:71]
	v_add_f64 v[72:73], v[76:77], -v[82:83]
	v_fma_f64 v[82:83], s[2:3], v[18:19], v[6:7]
	v_fmac_f64_e32 v[66:67], s[2:3], v[68:69]
	v_fma_f64 v[68:69], v[8:9], 2.0, -v[64:65]
	v_add_f64 v[74:75], v[78:79], v[80:81]
	v_fma_f64 v[80:81], s[2:3], v[16:17], v[4:5]
	v_fmac_f64_e32 v[82:83], s[2:3], v[16:17]
	v_add_f64 v[8:9], v[0:1], -v[36:37]
	v_add_f64 v[36:37], v[2:3], -v[38:39]
	;; [unrolled: 1-line block ×4, first 2 shown]
	ds_write_b128 v128, v[112:115] offset:160
	ds_write_b128 v128, v[56:59] offset:320
	;; [unrolled: 1-line block ×6, first 2 shown]
	v_mul_lo_u16_sdwa v12, v159, s16 dst_sel:DWORD dst_unused:UNUSED_PAD src0_sel:BYTE_1 src1_sel:DWORD
	v_fmac_f64_e32 v[80:81], s[0:1], v[18:19]
	v_fma_f64 v[138:139], v[6:7], 2.0, -v[82:83]
	v_fma_f64 v[6:7], v[32:33], 2.0, -v[16:17]
	;; [unrolled: 1-line block ×3, first 2 shown]
	v_add_f64 v[32:33], v[20:21], -v[48:49]
	v_add_f64 v[34:35], v[28:29], -v[26:27]
	v_or_b32_e32 v12, v12, v156
	v_fma_f64 v[136:137], v[4:5], 2.0, -v[80:81]
	v_fma_f64 v[4:5], v[2:3], 2.0, -v[36:37]
	;; [unrolled: 1-line block ×3, first 2 shown]
	v_add_f64 v[48:49], v[30:31], -v[50:51]
	v_fma_f64 v[20:21], v[28:29], 2.0, -v[34:35]
	v_and_b32_e32 v12, 0xff, v12
	v_fma_f64 v[70:71], v[10:11], 2.0, -v[66:67]
	v_fma_f64 v[0:1], v[0:1], 2.0, -v[8:9]
	;; [unrolled: 1-line block ×4, first 2 shown]
	v_add_f64 v[18:19], v[4:5], -v[18:19]
	v_add_f64 v[26:27], v[36:37], v[16:17]
	v_add_f64 v[16:17], v[2:3], -v[20:21]
	v_add_lshl_u32 v229, v140, v12, 4
	v_mul_u32_u24_sdwa v12, v231, s16 dst_sel:DWORD dst_unused:UNUSED_PAD src0_sel:BYTE_1 src1_sel:DWORD
	v_add_f64 v[6:7], v[0:1], -v[6:7]
	v_add_f64 v[22:23], v[8:9], -v[38:39]
	;; [unrolled: 1-line block ×4, first 2 shown]
	v_add_f64 v[30:31], v[24:25], v[34:35]
	v_add_f64 v[50:51], v[18:19], v[16:17]
	v_or_b32_e32 v12, v12, v157
	v_add_f64 v[48:49], v[6:7], -v[20:21]
	v_accvgpr_write_b32 a255, v51
	v_fma_f64 v[240:241], s[2:3], v[28:29], v[22:23]
	v_fma_f64 v[242:243], s[2:3], v[30:31], v[26:27]
	v_add_lshl_u32 v12, v140, v12, 4
	v_accvgpr_write_b32 a254, v50
	v_accvgpr_write_b32 a253, v49
	;; [unrolled: 1-line block ×3, first 2 shown]
	v_fmac_f64_e32 v[240:241], s[0:1], v[30:31]
	v_fmac_f64_e32 v[242:243], s[2:3], v[28:29]
	v_accvgpr_write_b32 a139, v128
	v_accvgpr_write_b32 a83, v12
	v_fma_f64 v[104:105], v[104:105], 2.0, -v[100:101]
	v_fma_f64 v[106:107], v[106:107], 2.0, -v[102:103]
	;; [unrolled: 1-line block ×4, first 2 shown]
	ds_write_b128 v128, v[120:123] offset:1120
	ds_write_b128 v229, v[88:91]
	ds_write_b128 v229, v[96:99] offset:160
	ds_write_b128 v229, v[104:107] offset:320
	ds_write_b128 v229, v[132:135] offset:480
	ds_write_b128 v229, v[84:87] offset:640
	ds_write_b128 v229, v[92:95] offset:800
	ds_write_b128 v229, v[100:103] offset:960
	ds_write_b128 v229, v[108:111] offset:1120
	ds_write_b128 v12, v[44:47]
	ds_write_b128 v12, v[68:71] offset:160
	ds_write_b128 v12, v[76:79] offset:320
	;; [unrolled: 1-line block ×7, first 2 shown]
	s_and_saveexec_b64 s[14:15], vcc
	s_cbranch_execz .LBB0_5
; %bb.4:
	v_fma_f64 v[14:15], v[26:27], 2.0, -v[242:243]
	v_accvgpr_read_b32 v42, a252
	v_fma_f64 v[26:27], v[36:37], 2.0, -v[26:27]
	v_fma_f64 v[30:31], v[24:25], 2.0, -v[30:31]
	;; [unrolled: 1-line block ×7, first 2 shown]
	v_accvgpr_read_b32 v43, a253
	v_fma_f64 v[24:25], s[0:1], v[30:31], v[26:27]
	v_fma_f64 v[22:23], s[0:1], v[32:33], v[8:9]
	v_add_f64 v[2:3], v[0:1], -v[2:3]
	v_fma_f64 v[38:39], v[6:7], 2.0, -v[42:43]
	v_fmac_f64_e32 v[24:25], s[2:3], v[32:33]
	v_fmac_f64_e32 v[22:23], s[0:1], v[30:31]
	v_fma_f64 v[6:7], v[0:1], 2.0, -v[2:3]
	v_accvgpr_read_b32 v0, a137
	v_fma_f64 v[28:29], v[26:27], 2.0, -v[24:25]
	v_fma_f64 v[26:27], v[8:9], 2.0, -v[22:23]
	;; [unrolled: 1-line block ×4, first 2 shown]
	v_mul_u32_u24_sdwa v0, v0, s16 dst_sel:DWORD dst_unused:UNUSED_PAD src0_sel:BYTE_1 src1_sel:DWORD
	v_accvgpr_read_b32 v1, a138
	v_add_f64 v[4:5], v[8:9], -v[4:5]
	v_or_b32_e32 v0, v0, v1
	v_accvgpr_read_b32 v1, a45
	v_accvgpr_read_b32 v44, a254
	;; [unrolled: 1-line block ×3, first 2 shown]
	v_fma_f64 v[8:9], v[8:9], 2.0, -v[4:5]
	v_add_lshl_u32 v0, v1, v0, 4
	v_fma_f64 v[40:41], v[18:19], 2.0, -v[44:45]
	ds_write_b128 v0, v[6:9]
	ds_write_b128 v0, v[26:29] offset:160
	ds_write_b128 v0, v[38:41] offset:320
	;; [unrolled: 1-line block ×7, first 2 shown]
.LBB0_5:
	s_or_b64 exec, exec, s[14:15]
	v_pk_mov_b32 v[0:1], s[10:11], s[10:11] op_sel:[0,1]
	v_mad_u64_u32 v[60:61], s[0:1], v158, s16, v[0:1]
	s_waitcnt lgkmcnt(0)
	; wave barrier
	s_waitcnt lgkmcnt(0)
	global_load_dwordx4 v[208:211], v[60:61], off offset:1120
	global_load_dwordx4 v[204:207], v[60:61], off offset:1136
	;; [unrolled: 1-line block ×6, first 2 shown]
	ds_read_b128 v[100:103], v230
	ds_read_b128 v[96:99], v224 offset:256
	global_load_dwordx4 v[216:219], v[60:61], off offset:2432
	global_load_dwordx4 v[8:11], v[60:61], off offset:2416
	v_accvgpr_write_b32 a44, v158
	ds_read_b128 v[156:159], v224 offset:2560
	ds_read_b128 v[120:123], v224 offset:2816
	;; [unrolled: 1-line block ×8, first 2 shown]
	global_load_dwordx4 v[12:15], v[60:61], off offset:2448
	ds_read_b128 v[128:131], v224 offset:6656
	ds_read_b128 v[108:111], v224 offset:6912
	global_load_dwordx4 v[24:27], v[60:61], off offset:2464
	ds_read_b128 v[92:95], v224 offset:512
	ds_read_b128 v[88:91], v224 offset:768
	global_load_dwordx4 v[20:23], v[60:61], off offset:3696
	global_load_dwordx4 v[32:35], v[60:61], off offset:3680
	ds_read_b128 v[164:167], v224 offset:3072
	ds_read_b128 v[140:143], v224 offset:3328
	ds_read_b128 v[160:163], v224 offset:5632
	ds_read_b128 v[136:139], v224 offset:5888
	ds_read_b128 v[180:183], v224 offset:1280
	ds_read_b128 v[84:87], v224 offset:1024
	global_load_dwordx4 v[28:31], v[60:61], off offset:3728
	global_load_dwordx4 v[36:39], v[60:61], off offset:3712
	s_movk_i32 s0, 0x500
	v_add_co_u32_e64 v62, s[0:1], s0, v60
	ds_read_b128 v[172:175], v224 offset:2048
	ds_read_b128 v[152:155], v224 offset:2304
	;; [unrolled: 1-line block ×6, first 2 shown]
	global_load_dwordx4 v[40:43], v[60:61], off offset:3744
	v_addc_co_u32_e64 v63, s[0:1], 0, v61, s[0:1]
	global_load_dwordx4 v[52:55], v[62:63], off offset:3680
	ds_read_b128 v[188:191], v224 offset:6400
	ds_read_b128 v[176:179], v224 offset:6144
	global_load_dwordx4 v[44:47], v[62:63], off offset:3712
	global_load_dwordx4 v[56:59], v[62:63], off offset:3696
	ds_read_b128 v[192:195], v224 offset:7168
	ds_read_b128 v[236:239], v224 offset:7424
	s_movk_i32 s0, 0xa00
	global_load_dwordx4 v[48:51], v[62:63], off offset:3728
	v_add_co_u32_e64 v196, s[0:1], s0, v60
	v_addc_co_u32_e64 v197, s[0:1], 0, v61, s[0:1]
	global_load_dwordx4 v[72:75], v[62:63], off offset:3744
	s_nop 0
	global_load_dwordx4 v[60:63], v[196:197], off offset:3728
	global_load_dwordx4 v[64:67], v[196:197], off offset:3712
	;; [unrolled: 1-line block ×4, first 2 shown]
	s_add_u32 s2, s8, 0x1e00
	buffer_store_dword v230, off, s[24:27], 0 ; 4-byte Folded Spill
	s_addc_u32 s3, s9, 0
	s_mov_b32 s8, 0xe8584caa
	s_mov_b32 s9, 0x3febb67a
	;; [unrolled: 1-line block ×13, first 2 shown]
	s_waitcnt vmcnt(24) lgkmcnt(11)
	v_mul_f64 v[198:199], v[182:183], v[210:211]
	v_mul_f64 v[220:221], v[180:181], v[210:211]
	v_fma_f64 v[222:223], v[180:181], v[208:209], -v[198:199]
	s_waitcnt vmcnt(21)
	v_mul_f64 v[180:181], v[82:83], v[2:3]
	v_mul_f64 v[252:253], v[80:81], v[2:3]
	v_fma_f64 v[250:251], v[80:81], v[0:1], -v[180:181]
	v_fmac_f64_e32 v[252:253], v[82:83], v[0:1]
	global_load_dwordx4 v[80:83], v[196:197], off offset:3744
	v_accvgpr_write_b32 a127, v3
	v_accvgpr_write_b32 a0, v208
	;; [unrolled: 1-line block ×5, first 2 shown]
	s_waitcnt vmcnt(20)
	v_mul_f64 v[2:3], v[134:135], v[18:19]
	v_accvgpr_write_b32 a1, v209
	v_accvgpr_write_b32 a2, v210
	;; [unrolled: 1-line block ×3, first 2 shown]
	v_fmac_f64_e32 v[220:221], v[182:183], v[208:209]
	v_fma_f64 v[208:209], v[132:133], v[16:17], -v[2:3]
	s_waitcnt vmcnt(18)
	v_mul_f64 v[2:3], v[122:123], v[10:11]
	v_mul_f64 v[210:211], v[132:133], v[18:19]
	v_fma_f64 v[2:3], v[120:121], v[8:9], -v[2:3]
	v_mul_f64 v[132:133], v[120:121], v[10:11]
	v_mul_f64 v[120:121], v[126:127], v[218:219]
	;; [unrolled: 1-line block ×3, first 2 shown]
	s_waitcnt lgkmcnt(7)
	v_mul_f64 v[202:203], v[186:187], v[6:7]
	v_mul_f64 v[244:245], v[184:185], v[6:7]
	v_accvgpr_write_b32 a131, v7
	v_fmac_f64_e32 v[210:211], v[134:135], v[16:17]
	v_fma_f64 v[134:135], v[124:125], v[216:217], -v[120:121]
	v_mul_f64 v[124:125], v[124:125], v[218:219]
	s_waitcnt vmcnt(17)
	v_mul_f64 v[120:121], v[118:119], v[14:15]
	v_mul_f64 v[230:231], v[156:157], v[206:207]
	v_fma_f64 v[246:247], v[156:157], v[204:205], -v[200:201]
	v_fma_f64 v[248:249], v[184:185], v[4:5], -v[202:203]
	v_accvgpr_write_b32 a130, v6
	v_accvgpr_write_b32 a129, v5
	;; [unrolled: 1-line block ×3, first 2 shown]
	v_fmac_f64_e32 v[244:245], v[186:187], v[4:5]
	s_waitcnt lgkmcnt(3)
	v_mul_f64 v[156:157], v[190:191], v[214:215]
	v_fmac_f64_e32 v[124:125], v[126:127], v[216:217]
	v_fma_f64 v[126:127], v[116:117], v[12:13], -v[120:121]
	v_mul_f64 v[4:5], v[116:117], v[14:15]
	s_waitcnt vmcnt(14)
	v_mul_f64 v[116:117], v[114:115], v[34:35]
	v_fmac_f64_e32 v[230:231], v[158:159], v[204:205]
	v_fma_f64 v[254:255], v[188:189], v[212:213], -v[156:157]
	v_mul_f64 v[0:1], v[188:189], v[214:215]
	v_accvgpr_write_b32 a4, v212
	v_fma_f64 v[156:157], v[112:113], v[32:33], -v[116:117]
	v_mul_f64 v[158:159], v[112:113], v[34:35]
	v_mul_f64 v[112:113], v[166:167], v[22:23]
	v_accvgpr_write_b32 a132, v204
	v_accvgpr_write_b32 a5, v213
	;; [unrolled: 1-line block ×4, first 2 shown]
	v_fmac_f64_e32 v[0:1], v[190:191], v[212:213]
	v_fma_f64 v[212:213], v[164:165], v[20:21], -v[112:113]
	s_waitcnt vmcnt(12)
	v_mul_f64 v[112:113], v[106:107], v[38:39]
	v_accvgpr_write_b32 a133, v205
	v_accvgpr_write_b32 a134, v206
	v_accvgpr_write_b32 a135, v207
	v_accvgpr_write_b32 a8, v216
	v_fma_f64 v[204:205], v[104:105], v[36:37], -v[112:113]
	v_mul_f64 v[206:207], v[104:105], v[38:39]
	v_mul_f64 v[104:105], v[162:163], v[30:31]
	v_accvgpr_write_b32 a9, v217
	v_accvgpr_write_b32 a10, v218
	;; [unrolled: 1-line block ×3, first 2 shown]
	v_fma_f64 v[216:217], v[160:161], v[28:29], -v[104:105]
	s_waitcnt vmcnt(11)
	v_mul_f64 v[104:105], v[110:111], v[42:43]
	v_mul_f64 v[218:219], v[160:161], v[30:31]
	v_fma_f64 v[160:161], v[108:109], v[40:41], -v[104:105]
	s_waitcnt vmcnt(10)
	v_mul_f64 v[104:105], v[174:175], v[54:55]
	v_fma_f64 v[182:183], v[172:173], v[52:53], -v[104:105]
	s_waitcnt vmcnt(8)
	v_mul_f64 v[104:105], v[142:143], v[58:59]
	v_mul_f64 v[232:233], v[172:173], v[54:55]
	v_fma_f64 v[172:173], v[140:141], v[56:57], -v[104:105]
	v_mul_f64 v[104:105], v[170:171], v[46:47]
	v_mul_f64 v[214:215], v[164:165], v[22:23]
	v_fma_f64 v[164:165], v[168:169], v[44:45], -v[104:105]
	s_waitcnt vmcnt(7)
	v_mul_f64 v[104:105], v[138:139], v[50:51]
	v_fma_f64 v[180:181], v[136:137], v[48:49], -v[104:105]
	s_waitcnt vmcnt(6) lgkmcnt(1)
	v_mul_f64 v[104:105], v[194:195], v[74:75]
	v_fmac_f64_e32 v[214:215], v[166:167], v[20:21]
	v_mul_f64 v[166:167], v[168:169], v[46:47]
	v_fma_f64 v[168:169], v[192:193], v[72:73], -v[104:105]
	s_waitcnt vmcnt(2)
	v_mul_f64 v[104:105], v[154:155], v[78:79]
	v_fma_f64 v[198:199], v[152:153], v[76:77], -v[104:105]
	v_mul_f64 v[104:105], v[150:151], v[70:71]
	v_fmac_f64_e32 v[166:167], v[170:171], v[44:45]
	v_mul_f64 v[170:171], v[192:193], v[74:75]
	v_fma_f64 v[192:193], v[148:149], v[68:69], -v[104:105]
	v_mul_f64 v[104:105], v[146:147], v[66:67]
	v_fma_f64 v[184:185], v[144:145], v[64:65], -v[104:105]
	v_mul_f64 v[104:105], v[178:179], v[62:63]
	v_fma_f64 v[196:197], v[176:177], v[60:61], -v[104:105]
	s_waitcnt vmcnt(0) lgkmcnt(0)
	v_mul_f64 v[104:105], v[238:239], v[82:83]
	v_fma_f64 v[188:189], v[236:237], v[80:81], -v[104:105]
	v_add_f64 v[104:105], v[100:101], v[246:247]
	v_fmac_f64_e32 v[206:207], v[106:107], v[36:37]
	v_add_f64 v[106:107], v[104:105], v[250:251]
	v_add_f64 v[104:105], v[246:247], v[250:251]
	v_fmac_f64_e32 v[100:101], -0.5, v[104:105]
	v_add_f64 v[104:105], v[230:231], -v[252:253]
	v_fma_f64 v[116:117], s[8:9], v[104:105], v[100:101]
	v_fmac_f64_e32 v[100:101], s[0:1], v[104:105]
	v_add_f64 v[104:105], v[102:103], v[230:231]
	v_fmac_f64_e32 v[158:159], v[114:115], v[32:33]
	v_add_f64 v[114:115], v[104:105], v[252:253]
	v_add_f64 v[104:105], v[230:231], v[252:253]
	v_fmac_f64_e32 v[102:103], -0.5, v[104:105]
	v_add_f64 v[104:105], v[246:247], -v[250:251]
	v_fmac_f64_e32 v[4:5], v[118:119], v[12:13]
	v_fma_f64 v[118:119], s[0:1], v[104:105], v[102:103]
	v_fmac_f64_e32 v[102:103], s[8:9], v[104:105]
	v_add_f64 v[104:105], v[222:223], v[248:249]
	v_add_f64 v[112:113], v[104:105], v[254:255]
	;; [unrolled: 1-line block ×3, first 2 shown]
	v_fmac_f64_e32 v[218:219], v[162:163], v[28:29]
	v_mul_f64 v[162:163], v[108:109], v[42:43]
	v_fmac_f64_e32 v[222:223], -0.5, v[104:105]
	v_add_f64 v[104:105], v[244:245], -v[0:1]
	v_fmac_f64_e32 v[162:163], v[110:111], v[40:41]
	v_fma_f64 v[110:111], s[8:9], v[104:105], v[222:223]
	v_fmac_f64_e32 v[222:223], s[0:1], v[104:105]
	v_add_f64 v[104:105], v[220:221], v[244:245]
	v_mul_f64 v[6:7], v[130:131], v[26:27]
	v_add_f64 v[120:121], v[104:105], v[0:1]
	v_add_f64 v[0:1], v[244:245], v[0:1]
	v_fma_f64 v[6:7], v[128:129], v[24:25], -v[6:7]
	v_mul_f64 v[128:129], v[128:129], v[26:27]
	v_fmac_f64_e32 v[220:221], -0.5, v[0:1]
	v_add_f64 v[0:1], v[248:249], -v[254:255]
	v_fmac_f64_e32 v[132:133], v[122:123], v[8:9]
	v_fmac_f64_e32 v[128:129], v[130:131], v[24:25]
	v_fma_f64 v[122:123], s[0:1], v[0:1], v[220:221]
	v_mul_f64 v[130:131], v[110:111], s[0:1]
	v_fmac_f64_e32 v[220:221], s[8:9], v[0:1]
	v_mul_f64 v[0:1], v[122:123], s[8:9]
	v_fmac_f64_e32 v[130:131], 0.5, v[122:123]
	v_mul_f64 v[234:235], v[136:137], v[50:51]
	v_add_f64 v[108:109], v[106:107], v[112:113]
	v_fmac_f64_e32 v[0:1], 0.5, v[110:111]
	v_mul_f64 v[136:137], v[222:223], -0.5
	v_add_f64 v[112:113], v[106:107], -v[112:113]
	v_add_f64 v[106:107], v[118:119], v[130:131]
	v_add_f64 v[118:119], v[118:119], -v[130:131]
	v_add_f64 v[130:131], v[2:3], v[126:127]
	v_fmac_f64_e32 v[234:235], v[138:139], v[48:49]
	v_add_f64 v[104:105], v[116:117], v[0:1]
	v_fmac_f64_e32 v[136:137], s[8:9], v[220:221]
	v_mul_f64 v[138:139], v[220:221], -0.5
	v_add_f64 v[116:117], v[116:117], -v[0:1]
	v_add_f64 v[0:1], v[96:97], v[2:3]
	v_fmac_f64_e32 v[96:97], -0.5, v[130:131]
	v_add_f64 v[130:131], v[132:133], -v[4:5]
	v_add_f64 v[110:111], v[114:115], v[120:121]
	v_add_f64 v[114:115], v[114:115], -v[120:121]
	v_add_f64 v[120:121], v[100:101], v[136:137]
	v_fmac_f64_e32 v[138:139], s[0:1], v[222:223]
	v_add_f64 v[100:101], v[100:101], -v[136:137]
	v_fma_f64 v[136:137], s[8:9], v[130:131], v[96:97]
	v_fmac_f64_e32 v[96:97], s[0:1], v[130:131]
	v_add_f64 v[130:131], v[98:99], v[132:133]
	v_add_f64 v[122:123], v[102:103], v[138:139]
	v_add_f64 v[102:103], v[102:103], -v[138:139]
	v_add_f64 v[138:139], v[130:131], v[4:5]
	v_add_f64 v[4:5], v[132:133], v[4:5]
	;; [unrolled: 1-line block ×3, first 2 shown]
	v_fmac_f64_e32 v[98:99], -0.5, v[4:5]
	v_add_f64 v[2:3], v[2:3], -v[126:127]
	v_add_f64 v[126:127], v[134:135], v[6:7]
	v_fma_f64 v[4:5], s[0:1], v[2:3], v[98:99]
	v_fmac_f64_e32 v[98:99], s[8:9], v[2:3]
	v_add_f64 v[2:3], v[208:209], v[134:135]
	v_fmac_f64_e32 v[208:209], -0.5, v[126:127]
	v_add_f64 v[126:127], v[124:125], -v[128:129]
	v_fma_f64 v[130:131], s[8:9], v[126:127], v[208:209]
	v_fmac_f64_e32 v[208:209], s[0:1], v[126:127]
	v_add_f64 v[126:127], v[210:211], v[124:125]
	v_add_f64 v[124:125], v[124:125], v[128:129]
	;; [unrolled: 1-line block ×3, first 2 shown]
	v_fmac_f64_e32 v[210:211], -0.5, v[124:125]
	v_add_f64 v[6:7], v[134:135], -v[6:7]
	v_mul_f64 v[186:187], v[144:145], v[66:67]
	v_fma_f64 v[132:133], s[0:1], v[6:7], v[210:211]
	v_fmac_f64_e32 v[210:211], s[8:9], v[6:7]
	v_mul_f64 v[144:145], v[130:131], s[0:1]
	v_add_f64 v[126:127], v[126:127], v[128:129]
	v_add_f64 v[128:129], v[0:1], v[2:3]
	v_mul_f64 v[6:7], v[132:133], s[8:9]
	v_fmac_f64_e32 v[144:145], 0.5, v[132:133]
	v_add_f64 v[132:133], v[0:1], -v[2:3]
	v_mul_f64 v[0:1], v[210:211], -0.5
	v_fmac_f64_e32 v[232:233], v[174:175], v[52:53]
	v_mul_f64 v[174:175], v[140:141], v[58:59]
	v_fmac_f64_e32 v[6:7], 0.5, v[130:131]
	v_fmac_f64_e32 v[0:1], s[0:1], v[208:209]
	v_add_f64 v[2:3], v[212:213], v[216:217]
	v_fmac_f64_e32 v[174:175], v[142:143], v[56:57]
	v_add_f64 v[124:125], v[136:137], v[6:7]
	v_add_f64 v[142:143], v[98:99], v[0:1]
	v_add_f64 v[136:137], v[136:137], -v[6:7]
	v_add_f64 v[98:99], v[98:99], -v[0:1]
	v_add_f64 v[0:1], v[92:93], v[212:213]
	v_fmac_f64_e32 v[92:93], -0.5, v[2:3]
	v_add_f64 v[2:3], v[214:215], -v[218:219]
	v_add_f64 v[6:7], v[214:215], v[218:219]
	v_fmac_f64_e32 v[186:187], v[146:147], v[64:65]
	v_mul_f64 v[146:147], v[208:209], -0.5
	v_add_f64 v[130:131], v[138:139], v[126:127]
	v_add_f64 v[134:135], v[138:139], -v[126:127]
	v_add_f64 v[126:127], v[4:5], v[144:145]
	v_add_f64 v[138:139], v[4:5], -v[144:145]
	v_fma_f64 v[4:5], s[8:9], v[2:3], v[92:93]
	v_fmac_f64_e32 v[92:93], s[0:1], v[2:3]
	v_add_f64 v[2:3], v[94:95], v[214:215]
	v_fmac_f64_e32 v[94:95], -0.5, v[6:7]
	v_add_f64 v[6:7], v[212:213], -v[216:217]
	v_add_f64 v[144:145], v[204:205], v[160:161]
	v_mul_f64 v[202:203], v[176:177], v[62:63]
	v_fmac_f64_e32 v[146:147], s[8:9], v[210:211]
	v_fma_f64 v[176:177], s[0:1], v[6:7], v[94:95]
	v_fmac_f64_e32 v[94:95], s[8:9], v[6:7]
	v_add_f64 v[6:7], v[156:157], v[204:205]
	v_fmac_f64_e32 v[156:157], -0.5, v[144:145]
	v_add_f64 v[144:145], v[206:207], -v[162:163]
	v_mul_f64 v[200:201], v[152:153], v[78:79]
	v_add_f64 v[140:141], v[96:97], v[146:147]
	v_add_f64 v[96:97], v[96:97], -v[146:147]
	v_fma_f64 v[146:147], s[8:9], v[144:145], v[156:157]
	v_fmac_f64_e32 v[156:157], s[0:1], v[144:145]
	v_add_f64 v[144:145], v[158:159], v[206:207]
	v_fmac_f64_e32 v[200:201], v[154:155], v[76:77]
	v_add_f64 v[154:155], v[144:145], v[162:163]
	v_add_f64 v[144:145], v[206:207], v[162:163]
	v_fmac_f64_e32 v[170:171], v[194:195], v[72:73]
	v_mul_f64 v[194:195], v[148:149], v[70:71]
	v_fmac_f64_e32 v[158:159], -0.5, v[144:145]
	v_add_f64 v[144:145], v[204:205], -v[160:161]
	v_fmac_f64_e32 v[194:195], v[150:151], v[68:69]
	v_add_f64 v[0:1], v[0:1], v[216:217]
	v_add_f64 v[6:7], v[6:7], v[160:161]
	v_fma_f64 v[150:151], s[0:1], v[144:145], v[158:159]
	v_fmac_f64_e32 v[158:159], s[8:9], v[144:145]
	v_add_f64 v[2:3], v[2:3], v[218:219]
	v_add_f64 v[148:149], v[0:1], v[6:7]
	v_mul_f64 v[204:205], v[146:147], s[0:1]
	v_add_f64 v[152:153], v[0:1], -v[6:7]
	v_mul_f64 v[0:1], v[158:159], -0.5
	v_fmac_f64_e32 v[202:203], v[178:179], v[60:61]
	v_mul_f64 v[178:179], v[150:151], s[8:9]
	v_fmac_f64_e32 v[204:205], 0.5, v[150:151]
	v_add_f64 v[150:151], v[2:3], v[154:155]
	v_add_f64 v[154:155], v[2:3], -v[154:155]
	v_fmac_f64_e32 v[0:1], s[0:1], v[156:157]
	v_add_f64 v[2:3], v[172:173], v[180:181]
	v_fmac_f64_e32 v[178:179], 0.5, v[146:147]
	v_add_f64 v[162:163], v[94:95], v[0:1]
	v_add_f64 v[94:95], v[94:95], -v[0:1]
	v_add_f64 v[0:1], v[88:89], v[172:173]
	v_fmac_f64_e32 v[88:89], -0.5, v[2:3]
	v_add_f64 v[2:3], v[174:175], -v[234:235]
	v_add_f64 v[6:7], v[174:175], v[234:235]
	v_add_f64 v[144:145], v[4:5], v[178:179]
	v_mul_f64 v[206:207], v[156:157], -0.5
	v_add_f64 v[156:157], v[4:5], -v[178:179]
	v_fma_f64 v[4:5], s[8:9], v[2:3], v[88:89]
	v_fmac_f64_e32 v[88:89], s[0:1], v[2:3]
	v_add_f64 v[2:3], v[90:91], v[174:175]
	v_fmac_f64_e32 v[90:91], -0.5, v[6:7]
	v_add_f64 v[6:7], v[172:173], -v[180:181]
	v_add_f64 v[172:173], v[164:165], v[168:169]
	v_fma_f64 v[178:179], s[0:1], v[6:7], v[90:91]
	v_fmac_f64_e32 v[90:91], s[8:9], v[6:7]
	v_add_f64 v[6:7], v[182:183], v[164:165]
	v_fmac_f64_e32 v[182:183], -0.5, v[172:173]
	v_add_f64 v[172:173], v[166:167], -v[170:171]
	v_fma_f64 v[174:175], s[8:9], v[172:173], v[182:183]
	v_fmac_f64_e32 v[182:183], s[0:1], v[172:173]
	v_add_f64 v[172:173], v[232:233], v[166:167]
	v_add_f64 v[166:167], v[166:167], v[170:171]
	v_fmac_f64_e32 v[232:233], -0.5, v[166:167]
	v_add_f64 v[164:165], v[164:165], -v[168:169]
	v_add_f64 v[0:1], v[0:1], v[180:181]
	v_add_f64 v[6:7], v[6:7], v[168:169]
	v_fma_f64 v[166:167], s[0:1], v[164:165], v[232:233]
	v_fmac_f64_e32 v[232:233], s[8:9], v[164:165]
	v_fmac_f64_e32 v[206:207], s[8:9], v[158:159]
	v_add_f64 v[146:147], v[176:177], v[204:205]
	v_add_f64 v[158:159], v[176:177], -v[204:205]
	v_add_f64 v[2:3], v[2:3], v[234:235]
	v_add_f64 v[176:177], v[172:173], v[170:171]
	;; [unrolled: 1-line block ×3, first 2 shown]
	v_mul_f64 v[204:205], v[166:167], s[8:9]
	v_add_f64 v[172:173], v[0:1], -v[6:7]
	v_mul_f64 v[0:1], v[232:233], -0.5
	v_add_f64 v[160:161], v[92:93], v[206:207]
	v_add_f64 v[92:93], v[92:93], -v[206:207]
	v_fmac_f64_e32 v[204:205], 0.5, v[174:175]
	v_mul_f64 v[206:207], v[174:175], s[0:1]
	v_add_f64 v[170:171], v[2:3], v[176:177]
	v_add_f64 v[174:175], v[2:3], -v[176:177]
	v_fmac_f64_e32 v[0:1], s[0:1], v[182:183]
	v_add_f64 v[2:3], v[192:193], v[196:197]
	v_mul_f64 v[190:191], v[236:237], v[82:83]
	v_mul_f64 v[208:209], v[182:183], -0.5
	v_add_f64 v[182:183], v[90:91], v[0:1]
	v_add_f64 v[90:91], v[90:91], -v[0:1]
	v_add_f64 v[0:1], v[84:85], v[192:193]
	v_fmac_f64_e32 v[84:85], -0.5, v[2:3]
	v_add_f64 v[2:3], v[194:195], -v[202:203]
	v_add_f64 v[6:7], v[194:195], v[202:203]
	v_fmac_f64_e32 v[190:191], v[238:239], v[80:81]
	v_add_f64 v[164:165], v[4:5], v[204:205]
	v_add_f64 v[176:177], v[4:5], -v[204:205]
	v_fma_f64 v[4:5], s[8:9], v[2:3], v[84:85]
	v_fmac_f64_e32 v[84:85], s[0:1], v[2:3]
	v_add_f64 v[2:3], v[86:87], v[194:195]
	v_fmac_f64_e32 v[86:87], -0.5, v[6:7]
	v_add_f64 v[6:7], v[192:193], -v[196:197]
	v_add_f64 v[192:193], v[184:185], v[188:189]
	v_add_f64 v[2:3], v[2:3], v[202:203]
	v_fma_f64 v[202:203], s[0:1], v[6:7], v[86:87]
	v_fmac_f64_e32 v[86:87], s[8:9], v[6:7]
	v_add_f64 v[6:7], v[198:199], v[184:185]
	v_fmac_f64_e32 v[198:199], -0.5, v[192:193]
	v_add_f64 v[192:193], v[186:187], -v[190:191]
	v_fma_f64 v[194:195], s[8:9], v[192:193], v[198:199]
	v_fmac_f64_e32 v[198:199], s[0:1], v[192:193]
	v_add_f64 v[192:193], v[200:201], v[186:187]
	v_add_f64 v[186:187], v[186:187], v[190:191]
	v_fmac_f64_e32 v[200:201], -0.5, v[186:187]
	v_add_f64 v[184:185], v[184:185], -v[188:189]
	v_add_f64 v[0:1], v[0:1], v[196:197]
	v_add_f64 v[6:7], v[6:7], v[188:189]
	v_fma_f64 v[186:187], s[0:1], v[184:185], v[200:201]
	v_fmac_f64_e32 v[200:201], s[8:9], v[184:185]
	v_add_f64 v[196:197], v[192:193], v[190:191]
	v_add_f64 v[188:189], v[0:1], v[6:7]
	v_add_f64 v[192:193], v[0:1], -v[6:7]
	v_mul_f64 v[0:1], v[200:201], -0.5
	v_fmac_f64_e32 v[208:209], s[8:9], v[232:233]
	v_fmac_f64_e32 v[0:1], s[0:1], v[198:199]
	v_add_f64 v[180:181], v[88:89], v[208:209]
	v_add_f64 v[88:89], v[88:89], -v[208:209]
	v_mul_f64 v[208:209], v[198:199], -0.5
	v_add_f64 v[198:199], v[86:87], v[0:1]
	v_add_f64 v[86:87], v[86:87], -v[0:1]
	buffer_load_dword v0, off, s[24:27], 0  ; 4-byte Folded Reload
	v_fmac_f64_e32 v[206:207], 0.5, v[166:167]
	v_add_f64 v[166:167], v[178:179], v[206:207]
	v_add_f64 v[178:179], v[178:179], -v[206:207]
	v_mul_f64 v[204:205], v[186:187], s[8:9]
	v_mul_f64 v[206:207], v[194:195], s[0:1]
	v_fmac_f64_e32 v[204:205], 0.5, v[194:195]
	v_fmac_f64_e32 v[206:207], 0.5, v[186:187]
	v_fmac_f64_e32 v[208:209], s[8:9], v[200:201]
	v_add_f64 v[184:185], v[4:5], v[204:205]
	v_add_f64 v[190:191], v[2:3], v[196:197]
	v_add_f64 v[194:195], v[2:3], -v[196:197]
	v_add_f64 v[196:197], v[84:85], v[208:209]
	v_add_f64 v[186:187], v[202:203], v[206:207]
	v_add_f64 v[200:201], v[4:5], -v[204:205]
	v_add_f64 v[84:85], v[84:85], -v[208:209]
	;; [unrolled: 1-line block ×3, first 2 shown]
	s_waitcnt vmcnt(0)
	ds_write_b128 v0, v[108:111]
	ds_write_b128 v224, v[104:107] offset:1280
	ds_write_b128 v224, v[120:123] offset:2560
	;; [unrolled: 1-line block ×29, first 2 shown]
	s_waitcnt lgkmcnt(0)
	; wave barrier
	s_waitcnt lgkmcnt(0)
	global_load_dwordx4 v[124:127], v227, s[2:3]
	global_load_dwordx4 v[116:119], v227, s[2:3] offset:768
	global_load_dwordx4 v[120:123], v227, s[2:3] offset:1536
	global_load_dwordx4 v[104:107], v227, s[2:3] offset:2304
	global_load_dwordx4 v[108:111], v227, s[2:3] offset:3072
	global_load_dwordx4 v[88:91], v227, s[2:3] offset:3840
	buffer_load_dword v0, off, s[24:27], 0 offset:36 ; 4-byte Folded Reload
	v_accvgpr_read_b32 v2, a136
	s_mov_b32 s1, 0x3fee6f0e
	s_mov_b32 s0, s10
	;; [unrolled: 1-line block ×5, first 2 shown]
	s_waitcnt vmcnt(0)
	global_load_dwordx4 v[92:95], v0, s[2:3]
	s_nop 0
	buffer_load_dword v0, off, s[24:27], 0 offset:24 ; 4-byte Folded Reload
	s_waitcnt vmcnt(0)
	global_load_dwordx4 v[112:115], v0, s[2:3]
	s_nop 0
	buffer_load_dword v0, off, s[24:27], 0 offset:28 ; 4-byte Folded Reload
	s_waitcnt vmcnt(0)
	global_load_dwordx4 v[84:87], v0, s[2:3]
	s_nop 0
	buffer_load_dword v0, off, s[24:27], 0  ; 4-byte Folded Reload
	s_waitcnt vmcnt(0)
	ds_read_b128 v[128:131], v0
	buffer_load_dword v0, off, s[24:27], 0 offset:32 ; 4-byte Folded Reload
	s_waitcnt vmcnt(0)
	global_load_dwordx4 v[100:103], v0, s[2:3]
	global_load_dwordx4 v[96:99], v227, s[2:3] offset:256
	s_waitcnt lgkmcnt(0)
	v_mul_f64 v[0:1], v[130:131], v[126:127]
	v_fma_f64 v[132:133], v[128:129], v[124:125], -v[0:1]
	buffer_load_dword v0, off, s[24:27], 0  ; 4-byte Folded Reload
	v_mul_f64 v[134:135], v[128:129], v[126:127]
	v_fmac_f64_e32 v[134:135], v[130:131], v[124:125]
	s_waitcnt vmcnt(0)
	ds_write_b128 v0, v[132:135]
	ds_read_b128 v[132:135], v224 offset:768
	ds_read_b128 v[124:127], v224 offset:1024
	;; [unrolled: 1-line block ×3, first 2 shown]
	global_load_dwordx4 v[128:131], v227, s[2:3] offset:512
	global_load_dwordx4 v[148:151], v227, s[2:3] offset:1024
	s_waitcnt lgkmcnt(2)
	v_mul_f64 v[0:1], v[134:135], v[118:119]
	v_mul_f64 v[138:139], v[132:133], v[118:119]
	v_fma_f64 v[136:137], v[132:133], v[116:117], -v[0:1]
	v_fmac_f64_e32 v[138:139], v[134:135], v[116:117]
	ds_read_b128 v[116:119], v224 offset:1280
	s_waitcnt lgkmcnt(1)
	v_mul_f64 v[0:1], v[142:143], v[122:123]
	v_mul_f64 v[134:135], v[140:141], v[122:123]
	v_fma_f64 v[132:133], v[140:141], v[120:121], -v[0:1]
	v_fmac_f64_e32 v[134:135], v[142:143], v[120:121]
	ds_write_b128 v224, v[136:139] offset:768
	ds_read_b128 v[140:143], v224 offset:2304
	ds_write_b128 v224, v[132:135] offset:1536
	ds_read_b128 v[132:135], v224 offset:2560
	global_load_dwordx4 v[144:147], v227, s[2:3] offset:1792
	global_load_dwordx4 v[136:139], v227, s[2:3] offset:2560
	;; [unrolled: 1-line block ×3, first 2 shown]
	ds_read_b128 v[156:159], v224 offset:3072
	s_waitcnt lgkmcnt(3)
	v_mul_f64 v[0:1], v[142:143], v[106:107]
	v_mul_f64 v[154:155], v[140:141], v[106:107]
	v_fma_f64 v[152:153], v[140:141], v[104:105], -v[0:1]
	v_fmac_f64_e32 v[154:155], v[142:143], v[104:105]
	ds_read_b128 v[104:107], v224 offset:2816
	s_waitcnt lgkmcnt(1)
	v_mul_f64 v[0:1], v[158:159], v[110:111]
	v_fma_f64 v[160:161], v[156:157], v[108:109], -v[0:1]
	buffer_load_dword v0, off, s[24:27], 0 offset:16 ; 4-byte Folded Reload
	ds_read_b128 v[164:167], v224 offset:3840
	v_mul_f64 v[162:163], v[156:157], v[110:111]
	ds_write_b128 v224, v[152:155] offset:2304
	v_fmac_f64_e32 v[162:163], v[158:159], v[108:109]
	ds_read_b128 v[156:159], v224 offset:4096
	ds_write_b128 v224, v[160:163] offset:3072
	ds_read_b128 v[172:175], v224 offset:4608
	s_waitcnt lgkmcnt(4)
	v_mul_f64 v[162:163], v[164:165], v[90:91]
	v_fmac_f64_e32 v[162:163], v[166:167], v[88:89]
	ds_read_b128 v[176:179], v224 offset:5376
	ds_read_b128 v[184:187], v224 offset:6144
	global_load_dwordx4 v[140:143], v227, s[2:3] offset:3328
	global_load_dwordx4 v[108:111], v227, s[2:3] offset:3584
	;; [unrolled: 1-line block ×3, first 2 shown]
	ds_read_b128 v[192:195], v224 offset:3328
	s_waitcnt vmcnt(3)
	global_load_dwordx4 v[152:155], v0, s[2:3]
	v_mul_f64 v[0:1], v[166:167], v[90:91]
	v_fma_f64 v[160:161], v[164:165], v[88:89], -v[0:1]
	buffer_load_dword v0, off, s[24:27], 0 offset:20 ; 4-byte Folded Reload
	ds_write_b128 v224, v[160:163] offset:3840
	ds_read_b128 v[88:91], v224 offset:4352
	s_waitcnt lgkmcnt(5)
	v_mul_f64 v[166:167], v[172:173], v[94:95]
	v_fmac_f64_e32 v[166:167], v[174:175], v[92:93]
	s_waitcnt vmcnt(0)
	global_load_dwordx4 v[168:171], v0, s[2:3]
	s_nop 0
	buffer_load_dword v0, off, s[24:27], 0 offset:12 ; 4-byte Folded Reload
	s_waitcnt vmcnt(0)
	global_load_dwordx4 v[160:163], v0, s[2:3]
	v_mul_f64 v[0:1], v[174:175], v[94:95]
	v_fma_f64 v[164:165], v[172:173], v[92:93], -v[0:1]
	buffer_load_dword v0, off, s[24:27], 0 offset:4 ; 4-byte Folded Reload
	ds_write_b128 v224, v[164:167] offset:4608
	ds_read_b128 v[164:167], v224 offset:5632
	s_waitcnt lgkmcnt(6)
	v_mul_f64 v[174:175], v[176:177], v[114:115]
	v_fmac_f64_e32 v[174:175], v[178:179], v[112:113]
	s_waitcnt vmcnt(0)
	global_load_dwordx4 v[92:95], v0, s[2:3]
	v_mul_f64 v[0:1], v[178:179], v[114:115]
	v_fma_f64 v[172:173], v[176:177], v[112:113], -v[0:1]
	buffer_load_dword v0, off, s[24:27], 0 offset:8 ; 4-byte Folded Reload
	ds_read_b128 v[176:179], v224 offset:6912
	ds_write_b128 v224, v[172:175] offset:5376
	ds_read_b128 v[112:115], v224 offset:5888
	s_waitcnt lgkmcnt(8)
	v_mul_f64 v[174:175], v[184:185], v[86:87]
	v_fmac_f64_e32 v[174:175], v[186:187], v[84:85]
	s_waitcnt vmcnt(0)
	global_load_dwordx4 v[180:183], v0, s[2:3]
	v_mul_f64 v[0:1], v[186:187], v[86:87]
	v_fma_f64 v[172:173], v[184:185], v[84:85], -v[0:1]
	ds_read_b128 v[84:87], v224 offset:7168
	ds_read_b128 v[184:187], v224 offset:256
	ds_write_b128 v224, v[172:175] offset:6144
	s_waitcnt lgkmcnt(5)
	v_mul_f64 v[0:1], v[178:179], v[102:103]
	v_mul_f64 v[174:175], v[176:177], v[102:103]
	v_fma_f64 v[172:173], v[176:177], v[100:101], -v[0:1]
	v_fmac_f64_e32 v[174:175], v[178:179], v[100:101]
	ds_write_b128 v224, v[172:175] offset:6912
	ds_read_b128 v[172:175], v224 offset:512
	s_waitcnt lgkmcnt(3)
	v_mul_f64 v[0:1], v[186:187], v[98:99]
	v_fma_f64 v[176:177], v[184:185], v[96:97], -v[0:1]
	v_mul_f64 v[178:179], v[184:185], v[98:99]
	v_mul_f64 v[0:1], v[126:127], v[150:151]
	v_fmac_f64_e32 v[178:179], v[186:187], v[96:97]
	v_fma_f64 v[96:97], v[124:125], v[148:149], -v[0:1]
	buffer_load_dword v0, off, s[24:27], 0 offset:84 ; 4-byte Folded Reload
	ds_write_b128 v224, v[176:179] offset:256
	ds_read_b128 v[184:187], v224 offset:1792
	v_mul_f64 v[98:99], v[124:125], v[150:151]
	v_fmac_f64_e32 v[98:99], v[126:127], v[148:149]
	ds_write_b128 v224, v[96:99] offset:1024
	ds_read_b128 v[96:99], v224 offset:2048
	s_waitcnt lgkmcnt(2)
	v_mul_f64 v[150:151], v[184:185], v[146:147]
	v_fmac_f64_e32 v[150:151], v[186:187], v[144:145]
	global_load_dwordx4 v[100:103], v227, s[2:3] offset:2816
	s_waitcnt vmcnt(1)
	global_load_dwordx4 v[176:179], v0, s[2:3]
	s_nop 0
	buffer_load_dword v0, off, s[24:27], 0 offset:40 ; 4-byte Folded Reload
	s_waitcnt vmcnt(0)
	global_load_dwordx4 v[124:127], v0, s[2:3]
	v_mul_f64 v[0:1], v[186:187], v[146:147]
	v_fma_f64 v[148:149], v[184:185], v[144:145], -v[0:1]
	buffer_load_dword v0, off, s[24:27], 0 offset:44 ; 4-byte Folded Reload
	ds_write_b128 v224, v[148:151] offset:1792
	v_mul_f64 v[150:151], v[132:133], v[138:139]
	v_fmac_f64_e32 v[150:151], v[134:135], v[136:137]
	s_waitcnt vmcnt(0)
	global_load_dwordx4 v[144:147], v0, s[2:3]
	v_mul_f64 v[0:1], v[134:135], v[138:139]
	v_fma_f64 v[148:149], v[132:133], v[136:137], -v[0:1]
	buffer_load_dword v0, off, s[24:27], 0 offset:48 ; 4-byte Folded Reload
	global_load_dwordx4 v[136:139], v2, s[2:3]
	ds_write_b128 v224, v[148:151] offset:2560
	ds_read_b128 v[132:135], v224 offset:3584
	v_mul_f64 v[150:151], v[192:193], v[142:143]
	v_fmac_f64_e32 v[150:151], v[194:195], v[140:141]
	s_waitcnt vmcnt(1)
	global_load_dwordx4 v[184:187], v0, s[2:3]
	v_mul_f64 v[0:1], v[194:195], v[142:143]
	v_fma_f64 v[148:149], v[192:193], v[140:141], -v[0:1]
	ds_write_b128 v224, v[148:151] offset:3328
	ds_read_b128 v[148:151], v224 offset:4864
	v_mul_f64 v[0:1], v[158:159], v[154:155]
	v_mul_f64 v[142:143], v[156:157], v[154:155]
	v_fma_f64 v[140:141], v[156:157], v[152:153], -v[0:1]
	v_fmac_f64_e32 v[142:143], v[158:159], v[152:153]
	ds_write_b128 v224, v[140:143] offset:4096
	ds_read_b128 v[140:143], v224 offset:5120
	s_waitcnt lgkmcnt(2)
	v_mul_f64 v[0:1], v[150:151], v[170:171]
	v_mul_f64 v[154:155], v[148:149], v[170:171]
	v_fma_f64 v[152:153], v[148:149], v[168:169], -v[0:1]
	v_fmac_f64_e32 v[154:155], v[150:151], v[168:169]
	ds_write_b128 v224, v[152:155] offset:4864
	ds_read_b128 v[152:155], v224 offset:6400
	v_mul_f64 v[0:1], v[166:167], v[162:163]
	v_mul_f64 v[150:151], v[164:165], v[162:163]
	v_fma_f64 v[148:149], v[164:165], v[160:161], -v[0:1]
	v_fmac_f64_e32 v[150:151], v[166:167], v[160:161]
	ds_write_b128 v224, v[148:151] offset:5632
	ds_read_b128 v[148:151], v224 offset:6656
	s_waitcnt lgkmcnt(2)
	v_mul_f64 v[0:1], v[154:155], v[94:95]
	v_fma_f64 v[156:157], v[152:153], v[92:93], -v[0:1]
	v_mul_f64 v[158:159], v[152:153], v[94:95]
	v_mul_f64 v[0:1], v[86:87], v[182:183]
	;; [unrolled: 1-line block ×3, first 2 shown]
	v_fmac_f64_e32 v[158:159], v[154:155], v[92:93]
	v_fma_f64 v[92:93], v[84:85], v[180:181], -v[0:1]
	v_fmac_f64_e32 v[94:95], v[86:87], v[180:181]
	v_mul_f64 v[0:1], v[174:175], v[130:131]
	v_mul_f64 v[86:87], v[172:173], v[130:131]
	v_fma_f64 v[84:85], v[172:173], v[128:129], -v[0:1]
	v_fmac_f64_e32 v[86:87], v[174:175], v[128:129]
	ds_write_b128 v224, v[84:87] offset:512
	v_mul_f64 v[0:1], v[118:119], v[190:191]
	v_mul_f64 v[86:87], v[116:117], v[190:191]
	v_fma_f64 v[84:85], v[116:117], v[188:189], -v[0:1]
	v_fmac_f64_e32 v[86:87], v[118:119], v[188:189]
	ds_write_b128 v224, v[84:87] offset:1280
	;; [unrolled: 5-line block ×8, first 2 shown]
	ds_read_b128 v[84:87], v224 offset:7424
	ds_write_b128 v224, v[156:159] offset:6400
	ds_write_b128 v224, v[92:95] offset:7168
	s_mov_b32 s3, 0x3fe2cf23
	s_mov_b32 s2, s14
	s_waitcnt vmcnt(0) lgkmcnt(11)
	v_mul_f64 v[0:1], v[150:151], v[186:187]
	v_mul_f64 v[90:91], v[148:149], v[186:187]
	v_fma_f64 v[88:89], v[148:149], v[184:185], -v[0:1]
	v_fmac_f64_e32 v[90:91], v[150:151], v[184:185]
	ds_write_b128 v224, v[88:91] offset:6656
	s_waitcnt lgkmcnt(3)
	v_mul_f64 v[0:1], v[86:87], v[138:139]
	v_mul_f64 v[90:91], v[84:85], v[138:139]
	v_fma_f64 v[88:89], v[84:85], v[136:137], -v[0:1]
	v_fmac_f64_e32 v[90:91], v[86:87], v[136:137]
	ds_write_b128 v224, v[88:91] offset:7424
	s_waitcnt lgkmcnt(0)
	; wave barrier
	s_waitcnt lgkmcnt(0)
	buffer_load_dword v0, off, s[24:27], 0  ; 4-byte Folded Reload
	s_waitcnt vmcnt(0)
	ds_read_b128 v[144:147], v0
	ds_read_b128 v[112:115], v224 offset:256
	ds_read_b128 v[120:123], v224 offset:1536
	;; [unrolled: 1-line block ×29, first 2 shown]
	s_waitcnt lgkmcnt(14)
	v_add_f64 v[0:1], v[144:145], v[120:121]
	v_add_f64 v[0:1], v[0:1], v[128:129]
	;; [unrolled: 1-line block ×5, first 2 shown]
	v_fma_f64 v[84:85], -0.5, v[0:1], v[144:145]
	v_add_f64 v[0:1], v[122:123], -v[154:155]
	v_fma_f64 v[2:3], s[10:11], v[0:1], v[84:85]
	v_add_f64 v[4:5], v[130:131], -v[138:139]
	v_add_f64 v[6:7], v[120:121], -v[128:129]
	;; [unrolled: 1-line block ×3, first 2 shown]
	v_fmac_f64_e32 v[84:85], s[0:1], v[0:1]
	v_fmac_f64_e32 v[2:3], s[14:15], v[4:5]
	v_add_f64 v[6:7], v[6:7], v[204:205]
	v_fmac_f64_e32 v[84:85], s[2:3], v[4:5]
	v_fmac_f64_e32 v[2:3], s[8:9], v[6:7]
	;; [unrolled: 1-line block ×3, first 2 shown]
	v_add_f64 v[6:7], v[120:121], v[152:153]
	v_fmac_f64_e32 v[144:145], -0.5, v[6:7]
	v_fma_f64 v[6:7], s[0:1], v[4:5], v[144:145]
	v_add_f64 v[204:205], v[128:129], -v[120:121]
	v_add_f64 v[206:207], v[136:137], -v[152:153]
	v_fmac_f64_e32 v[144:145], s[10:11], v[4:5]
	v_add_f64 v[4:5], v[130:131], v[138:139]
	v_fmac_f64_e32 v[6:7], s[14:15], v[0:1]
	v_add_f64 v[204:205], v[204:205], v[206:207]
	v_fmac_f64_e32 v[144:145], s[2:3], v[0:1]
	v_fma_f64 v[4:5], -0.5, v[4:5], v[146:147]
	v_add_f64 v[120:121], v[120:121], -v[152:153]
	v_fmac_f64_e32 v[6:7], s[8:9], v[204:205]
	v_fmac_f64_e32 v[144:145], s[8:9], v[204:205]
	v_fma_f64 v[204:205], s[0:1], v[120:121], v[4:5]
	v_add_f64 v[128:129], v[128:129], -v[136:137]
	v_add_f64 v[136:137], v[122:123], -v[130:131]
	;; [unrolled: 1-line block ×3, first 2 shown]
	v_fmac_f64_e32 v[4:5], s[10:11], v[120:121]
	v_fmac_f64_e32 v[204:205], s[2:3], v[128:129]
	v_add_f64 v[136:137], v[136:137], v[152:153]
	v_fmac_f64_e32 v[4:5], s[14:15], v[128:129]
	v_fmac_f64_e32 v[204:205], s[8:9], v[136:137]
	;; [unrolled: 1-line block ×3, first 2 shown]
	v_add_f64 v[136:137], v[122:123], v[154:155]
	v_add_f64 v[0:1], v[146:147], v[122:123]
	v_fmac_f64_e32 v[146:147], -0.5, v[136:137]
	v_fma_f64 v[206:207], s[10:11], v[128:129], v[146:147]
	v_fmac_f64_e32 v[146:147], s[0:1], v[128:129]
	v_fmac_f64_e32 v[206:207], s[2:3], v[120:121]
	;; [unrolled: 1-line block ×3, first 2 shown]
	v_add_f64 v[120:121], v[148:149], v[132:133]
	s_waitcnt lgkmcnt(11)
	v_add_f64 v[120:121], v[120:121], v[156:157]
	v_add_f64 v[0:1], v[0:1], v[130:131]
	s_waitcnt lgkmcnt(7)
	v_add_f64 v[120:121], v[120:121], v[160:161]
	v_add_f64 v[0:1], v[0:1], v[138:139]
	v_add_f64 v[122:123], v[130:131], -v[122:123]
	v_add_f64 v[130:131], v[138:139], -v[154:155]
	s_waitcnt lgkmcnt(3)
	v_add_f64 v[152:153], v[120:121], v[164:165]
	v_add_f64 v[120:121], v[156:157], v[160:161]
	;; [unrolled: 1-line block ×4, first 2 shown]
	v_fma_f64 v[154:155], -0.5, v[120:121], v[148:149]
	v_add_f64 v[120:121], v[134:135], -v[166:167]
	v_fmac_f64_e32 v[206:207], s[8:9], v[122:123]
	v_fmac_f64_e32 v[146:147], s[8:9], v[122:123]
	v_fma_f64 v[122:123], s[10:11], v[120:121], v[154:155]
	v_add_f64 v[128:129], v[158:159], -v[162:163]
	v_add_f64 v[130:131], v[132:133], -v[156:157]
	;; [unrolled: 1-line block ×3, first 2 shown]
	v_fmac_f64_e32 v[154:155], s[0:1], v[120:121]
	v_fmac_f64_e32 v[122:123], s[14:15], v[128:129]
	v_add_f64 v[130:131], v[130:131], v[136:137]
	v_fmac_f64_e32 v[154:155], s[2:3], v[128:129]
	v_fmac_f64_e32 v[122:123], s[8:9], v[130:131]
	;; [unrolled: 1-line block ×3, first 2 shown]
	v_add_f64 v[130:131], v[132:133], v[164:165]
	v_fmac_f64_e32 v[148:149], -0.5, v[130:131]
	v_fma_f64 v[138:139], s[0:1], v[128:129], v[148:149]
	v_fmac_f64_e32 v[148:149], s[10:11], v[128:129]
	v_fmac_f64_e32 v[138:139], s[14:15], v[120:121]
	;; [unrolled: 1-line block ×3, first 2 shown]
	v_add_f64 v[120:121], v[150:151], v[134:135]
	v_add_f64 v[120:121], v[120:121], v[158:159]
	;; [unrolled: 1-line block ×3, first 2 shown]
	v_add_f64 v[130:131], v[156:157], -v[132:133]
	v_add_f64 v[136:137], v[160:161], -v[164:165]
	v_add_f64 v[208:209], v[120:121], v[166:167]
	v_add_f64 v[120:121], v[158:159], v[162:163]
	v_add_f64 v[130:131], v[130:131], v[136:137]
	v_fma_f64 v[210:211], -0.5, v[120:121], v[150:151]
	v_add_f64 v[120:121], v[132:133], -v[164:165]
	v_fmac_f64_e32 v[138:139], s[8:9], v[130:131]
	v_fmac_f64_e32 v[148:149], s[8:9], v[130:131]
	v_fma_f64 v[130:131], s[0:1], v[120:121], v[210:211]
	v_add_f64 v[128:129], v[156:157], -v[160:161]
	v_add_f64 v[132:133], v[134:135], -v[158:159]
	;; [unrolled: 1-line block ×3, first 2 shown]
	v_fmac_f64_e32 v[210:211], s[10:11], v[120:121]
	v_fmac_f64_e32 v[130:131], s[2:3], v[128:129]
	v_add_f64 v[132:133], v[132:133], v[136:137]
	v_fmac_f64_e32 v[210:211], s[14:15], v[128:129]
	v_fmac_f64_e32 v[130:131], s[8:9], v[132:133]
	v_fmac_f64_e32 v[210:211], s[8:9], v[132:133]
	v_add_f64 v[132:133], v[134:135], v[166:167]
	v_fmac_f64_e32 v[150:151], -0.5, v[132:133]
	v_fma_f64 v[156:157], s[10:11], v[128:129], v[150:151]
	v_add_f64 v[132:133], v[158:159], -v[134:135]
	v_add_f64 v[134:135], v[162:163], -v[166:167]
	v_fmac_f64_e32 v[150:151], s[0:1], v[128:129]
	v_add_f64 v[132:133], v[132:133], v[134:135]
	v_fmac_f64_e32 v[150:151], s[14:15], v[120:121]
	v_fmac_f64_e32 v[156:157], s[2:3], v[120:121]
	;; [unrolled: 1-line block ×3, first 2 shown]
	v_mul_f64 v[158:159], v[130:131], s[14:15]
	v_fmac_f64_e32 v[156:157], s[8:9], v[132:133]
	v_fmac_f64_e32 v[158:159], s[18:19], v[122:123]
	v_mul_f64 v[212:213], v[150:151], s[10:11]
	v_mul_f64 v[214:215], v[210:211], s[14:15]
	;; [unrolled: 1-line block ×4, first 2 shown]
	v_add_f64 v[128:129], v[2:3], v[158:159]
	v_mul_f64 v[166:167], v[156:157], s[10:11]
	v_mul_f64 v[216:217], v[122:123], s[2:3]
	;; [unrolled: 1-line block ×3, first 2 shown]
	v_fmac_f64_e32 v[150:151], s[0:1], v[148:149]
	v_fmac_f64_e32 v[210:211], s[2:3], v[154:155]
	v_add_f64 v[156:157], v[2:3], -v[158:159]
	v_add_f64 v[2:3], v[180:181], v[184:185]
	v_fmac_f64_e32 v[166:167], s[8:9], v[138:139]
	v_fmac_f64_e32 v[212:213], s[16:17], v[148:149]
	;; [unrolled: 1-line block ×5, first 2 shown]
	v_add_f64 v[138:139], v[146:147], v[150:151]
	v_add_f64 v[162:163], v[4:5], v[210:211]
	v_add_f64 v[150:151], v[146:147], -v[150:151]
	v_add_f64 v[146:147], v[4:5], -v[210:211]
	v_fma_f64 v[2:3], -0.5, v[2:3], v[112:113]
	v_add_f64 v[4:5], v[174:175], -v[194:195]
	v_add_f64 v[120:121], v[94:95], v[152:153]
	v_add_f64 v[132:133], v[6:7], v[166:167]
	;; [unrolled: 1-line block ×5, first 2 shown]
	v_add_f64 v[164:165], v[94:95], -v[152:153]
	v_add_f64 v[152:153], v[6:7], -v[166:167]
	;; [unrolled: 1-line block ×5, first 2 shown]
	v_fma_f64 v[6:7], s[10:11], v[4:5], v[2:3]
	v_add_f64 v[84:85], v[182:183], -v[186:187]
	v_add_f64 v[94:95], v[172:173], -v[180:181]
	;; [unrolled: 1-line block ×3, first 2 shown]
	v_fmac_f64_e32 v[2:3], s[0:1], v[4:5]
	v_fmac_f64_e32 v[6:7], s[14:15], v[84:85]
	v_add_f64 v[94:95], v[94:95], v[204:205]
	v_fmac_f64_e32 v[2:3], s[2:3], v[84:85]
	v_fmac_f64_e32 v[6:7], s[8:9], v[94:95]
	;; [unrolled: 1-line block ×3, first 2 shown]
	v_add_f64 v[94:95], v[172:173], v[192:193]
	v_add_f64 v[122:123], v[0:1], v[208:209]
	v_add_f64 v[166:167], v[0:1], -v[208:209]
	v_add_f64 v[0:1], v[112:113], v[172:173]
	v_fmac_f64_e32 v[112:113], -0.5, v[94:95]
	v_add_f64 v[134:135], v[206:207], v[218:219]
	v_add_f64 v[154:155], v[206:207], -v[218:219]
	v_add_f64 v[0:1], v[0:1], v[180:181]
	v_fma_f64 v[94:95], s[0:1], v[84:85], v[112:113]
	v_add_f64 v[204:205], v[180:181], -v[172:173]
	v_add_f64 v[206:207], v[184:185], -v[192:193]
	v_fmac_f64_e32 v[112:113], s[10:11], v[84:85]
	v_add_f64 v[84:85], v[182:183], v[186:187]
	v_add_f64 v[0:1], v[0:1], v[184:185]
	v_fmac_f64_e32 v[94:95], s[14:15], v[4:5]
	v_add_f64 v[204:205], v[204:205], v[206:207]
	v_fmac_f64_e32 v[112:113], s[2:3], v[4:5]
	v_fma_f64 v[84:85], -0.5, v[84:85], v[114:115]
	v_add_f64 v[172:173], v[172:173], -v[192:193]
	v_add_f64 v[0:1], v[0:1], v[192:193]
	v_fmac_f64_e32 v[94:95], s[8:9], v[204:205]
	v_fmac_f64_e32 v[112:113], s[8:9], v[204:205]
	v_fma_f64 v[204:205], s[0:1], v[172:173], v[84:85]
	v_add_f64 v[180:181], v[180:181], -v[184:185]
	v_add_f64 v[184:185], v[174:175], -v[182:183]
	;; [unrolled: 1-line block ×3, first 2 shown]
	v_fmac_f64_e32 v[84:85], s[10:11], v[172:173]
	v_fmac_f64_e32 v[204:205], s[2:3], v[180:181]
	v_add_f64 v[184:185], v[184:185], v[192:193]
	v_fmac_f64_e32 v[84:85], s[14:15], v[180:181]
	v_fmac_f64_e32 v[204:205], s[8:9], v[184:185]
	;; [unrolled: 1-line block ×3, first 2 shown]
	v_add_f64 v[184:185], v[174:175], v[194:195]
	v_add_f64 v[4:5], v[114:115], v[174:175]
	v_fmac_f64_e32 v[114:115], -0.5, v[184:185]
	v_fma_f64 v[206:207], s[10:11], v[180:181], v[114:115]
	v_fmac_f64_e32 v[114:115], s[0:1], v[180:181]
	v_fmac_f64_e32 v[206:207], s[2:3], v[172:173]
	;; [unrolled: 1-line block ×3, first 2 shown]
	v_add_f64 v[172:173], v[168:169], v[176:177]
	v_add_f64 v[172:173], v[172:173], v[188:189]
	;; [unrolled: 1-line block ×5, first 2 shown]
	v_add_f64 v[174:175], v[182:183], -v[174:175]
	v_add_f64 v[182:183], v[186:187], -v[194:195]
	s_waitcnt lgkmcnt(1)
	v_add_f64 v[192:193], v[172:173], v[200:201]
	v_add_f64 v[172:173], v[188:189], v[196:197]
	;; [unrolled: 1-line block ×4, first 2 shown]
	v_fma_f64 v[194:195], -0.5, v[172:173], v[168:169]
	v_add_f64 v[172:173], v[178:179], -v[202:203]
	v_fmac_f64_e32 v[206:207], s[8:9], v[174:175]
	v_fmac_f64_e32 v[114:115], s[8:9], v[174:175]
	v_fma_f64 v[174:175], s[10:11], v[172:173], v[194:195]
	v_add_f64 v[180:181], v[190:191], -v[198:199]
	v_add_f64 v[182:183], v[176:177], -v[188:189]
	;; [unrolled: 1-line block ×3, first 2 shown]
	v_fmac_f64_e32 v[194:195], s[0:1], v[172:173]
	v_fmac_f64_e32 v[174:175], s[14:15], v[180:181]
	v_add_f64 v[182:183], v[182:183], v[184:185]
	v_fmac_f64_e32 v[194:195], s[2:3], v[180:181]
	v_fmac_f64_e32 v[174:175], s[8:9], v[182:183]
	;; [unrolled: 1-line block ×3, first 2 shown]
	v_add_f64 v[182:183], v[176:177], v[200:201]
	v_fmac_f64_e32 v[168:169], -0.5, v[182:183]
	v_fma_f64 v[182:183], s[0:1], v[180:181], v[168:169]
	v_fmac_f64_e32 v[168:169], s[10:11], v[180:181]
	v_fmac_f64_e32 v[182:183], s[14:15], v[172:173]
	;; [unrolled: 1-line block ×3, first 2 shown]
	v_add_f64 v[172:173], v[170:171], v[178:179]
	v_add_f64 v[172:173], v[172:173], v[190:191]
	;; [unrolled: 1-line block ×3, first 2 shown]
	v_add_f64 v[184:185], v[188:189], -v[176:177]
	v_add_f64 v[186:187], v[196:197], -v[200:201]
	v_add_f64 v[208:209], v[172:173], v[202:203]
	v_add_f64 v[172:173], v[190:191], v[198:199]
	;; [unrolled: 1-line block ×3, first 2 shown]
	v_fma_f64 v[210:211], -0.5, v[172:173], v[170:171]
	v_add_f64 v[172:173], v[176:177], -v[200:201]
	v_fmac_f64_e32 v[182:183], s[8:9], v[184:185]
	v_fmac_f64_e32 v[168:169], s[8:9], v[184:185]
	v_fma_f64 v[186:187], s[0:1], v[172:173], v[210:211]
	v_add_f64 v[176:177], v[188:189], -v[196:197]
	v_add_f64 v[180:181], v[178:179], -v[190:191]
	;; [unrolled: 1-line block ×3, first 2 shown]
	v_fmac_f64_e32 v[210:211], s[10:11], v[172:173]
	v_fmac_f64_e32 v[186:187], s[2:3], v[176:177]
	v_add_f64 v[180:181], v[180:181], v[184:185]
	v_fmac_f64_e32 v[210:211], s[14:15], v[176:177]
	v_fmac_f64_e32 v[186:187], s[8:9], v[180:181]
	;; [unrolled: 1-line block ×3, first 2 shown]
	v_add_f64 v[180:181], v[178:179], v[202:203]
	v_fmac_f64_e32 v[170:171], -0.5, v[180:181]
	v_fma_f64 v[196:197], s[10:11], v[176:177], v[170:171]
	v_add_f64 v[178:179], v[190:191], -v[178:179]
	v_add_f64 v[180:181], v[198:199], -v[202:203]
	v_fmac_f64_e32 v[196:197], s[2:3], v[172:173]
	v_add_f64 v[178:179], v[178:179], v[180:181]
	v_fmac_f64_e32 v[170:171], s[0:1], v[176:177]
	v_fmac_f64_e32 v[196:197], s[8:9], v[178:179]
	;; [unrolled: 1-line block ×3, first 2 shown]
	v_add_f64 v[172:173], v[0:1], v[192:193]
	v_add_f64 v[200:201], v[0:1], -v[192:193]
	v_add_f64 v[0:1], v[96:97], v[116:117]
	v_mul_f64 v[202:203], v[196:197], s[10:11]
	v_add_f64 v[0:1], v[0:1], v[124:125]
	v_fmac_f64_e32 v[170:171], s[8:9], v[178:179]
	v_mul_f64 v[198:199], v[186:187], s[14:15]
	v_fmac_f64_e32 v[202:203], s[8:9], v[182:183]
	v_mul_f64 v[216:217], v[174:175], s[2:3]
	v_add_f64 v[0:1], v[0:1], v[140:141]
	v_fmac_f64_e32 v[198:199], s[18:19], v[174:175]
	v_add_f64 v[180:181], v[94:95], v[202:203]
	v_mul_f64 v[212:213], v[170:171], s[10:11]
	v_mul_f64 v[214:215], v[210:211], s[14:15]
	v_fmac_f64_e32 v[216:217], s[18:19], v[186:187]
	v_add_f64 v[192:193], v[94:95], -v[202:203]
	v_add_f64 v[94:95], v[0:1], v[232:233]
	v_add_f64 v[0:1], v[124:125], v[140:141]
	;; [unrolled: 1-line block ×3, first 2 shown]
	v_fmac_f64_e32 v[212:213], s[16:17], v[168:169]
	v_fmac_f64_e32 v[214:215], s[20:21], v[194:195]
	v_add_f64 v[178:179], v[204:205], v[216:217]
	v_mul_f64 v[218:219], v[196:197], s[8:9]
	v_mul_f64 v[170:171], v[170:171], s[16:17]
	v_add_f64 v[196:197], v[6:7], -v[198:199]
	v_add_f64 v[198:199], v[204:205], -v[216:217]
	v_fma_f64 v[204:205], -0.5, v[0:1], v[96:97]
	v_add_f64 v[0:1], v[118:119], -v[234:235]
	v_add_f64 v[184:185], v[112:113], v[212:213]
	v_add_f64 v[188:189], v[2:3], v[214:215]
	;; [unrolled: 1-line block ×3, first 2 shown]
	v_fmac_f64_e32 v[170:171], s[0:1], v[168:169]
	v_add_f64 v[168:169], v[112:113], -v[212:213]
	v_add_f64 v[112:113], v[2:3], -v[214:215]
	;; [unrolled: 1-line block ×3, first 2 shown]
	v_fma_f64 v[208:209], s[10:11], v[0:1], v[204:205]
	v_add_f64 v[2:3], v[126:127], -v[142:143]
	v_add_f64 v[4:5], v[116:117], -v[124:125]
	;; [unrolled: 1-line block ×3, first 2 shown]
	v_fmac_f64_e32 v[204:205], s[0:1], v[0:1]
	v_fmac_f64_e32 v[208:209], s[14:15], v[2:3]
	v_add_f64 v[4:5], v[4:5], v[6:7]
	v_fmac_f64_e32 v[204:205], s[2:3], v[2:3]
	v_mul_f64 v[210:211], v[210:211], s[20:21]
	v_fmac_f64_e32 v[208:209], s[8:9], v[4:5]
	v_fmac_f64_e32 v[204:205], s[8:9], v[4:5]
	v_add_f64 v[4:5], v[116:117], v[232:233]
	v_fmac_f64_e32 v[210:211], s[2:3], v[194:195]
	v_fmac_f64_e32 v[96:97], -0.5, v[4:5]
	v_fmac_f64_e32 v[218:219], s[0:1], v[182:183]
	v_add_f64 v[186:187], v[114:115], v[170:171]
	v_add_f64 v[190:191], v[84:85], v[210:211]
	v_add_f64 v[170:171], v[114:115], -v[170:171]
	v_add_f64 v[114:115], v[84:85], -v[210:211]
	v_fma_f64 v[4:5], s[0:1], v[2:3], v[96:97]
	v_add_f64 v[6:7], v[124:125], -v[116:117]
	v_add_f64 v[84:85], v[140:141], -v[232:233]
	v_fmac_f64_e32 v[96:97], s[10:11], v[2:3]
	v_add_f64 v[2:3], v[126:127], v[142:143]
	v_add_f64 v[182:183], v[206:207], v[218:219]
	v_add_f64 v[194:195], v[206:207], -v[218:219]
	v_fmac_f64_e32 v[4:5], s[14:15], v[0:1]
	v_add_f64 v[6:7], v[6:7], v[84:85]
	v_fmac_f64_e32 v[96:97], s[2:3], v[0:1]
	v_fma_f64 v[206:207], -0.5, v[2:3], v[98:99]
	v_add_f64 v[2:3], v[116:117], -v[232:233]
	v_fmac_f64_e32 v[4:5], s[8:9], v[6:7]
	v_fmac_f64_e32 v[96:97], s[8:9], v[6:7]
	v_fma_f64 v[6:7], s[0:1], v[2:3], v[206:207]
	v_add_f64 v[84:85], v[124:125], -v[140:141]
	v_add_f64 v[116:117], v[118:119], -v[126:127]
	;; [unrolled: 1-line block ×3, first 2 shown]
	v_fmac_f64_e32 v[206:207], s[10:11], v[2:3]
	v_fmac_f64_e32 v[6:7], s[2:3], v[84:85]
	v_add_f64 v[116:117], v[116:117], v[124:125]
	v_fmac_f64_e32 v[206:207], s[14:15], v[84:85]
	v_fmac_f64_e32 v[6:7], s[8:9], v[116:117]
	;; [unrolled: 1-line block ×3, first 2 shown]
	v_add_f64 v[116:117], v[118:119], v[234:235]
	v_add_f64 v[0:1], v[98:99], v[118:119]
	v_fmac_f64_e32 v[98:99], -0.5, v[116:117]
	v_fma_f64 v[210:211], s[10:11], v[84:85], v[98:99]
	v_add_f64 v[116:117], v[126:127], -v[118:119]
	v_add_f64 v[118:119], v[142:143], -v[234:235]
	v_fmac_f64_e32 v[98:99], s[0:1], v[84:85]
	v_add_f64 v[84:85], v[100:101], v[104:105]
	v_fmac_f64_e32 v[210:211], s[2:3], v[2:3]
	v_add_f64 v[116:117], v[116:117], v[118:119]
	v_fmac_f64_e32 v[98:99], s[14:15], v[2:3]
	v_fma_f64 v[212:213], -0.5, v[84:85], v[86:87]
	s_waitcnt lgkmcnt(0)
	v_add_f64 v[84:85], v[92:93], -v[110:111]
	v_add_f64 v[0:1], v[0:1], v[126:127]
	v_fmac_f64_e32 v[210:211], s[8:9], v[116:117]
	v_fmac_f64_e32 v[98:99], s[8:9], v[116:117]
	v_fma_f64 v[118:119], s[10:11], v[84:85], v[212:213]
	v_add_f64 v[116:117], v[102:103], -v[106:107]
	v_add_f64 v[124:125], v[90:91], -v[100:101]
	;; [unrolled: 1-line block ×3, first 2 shown]
	v_fmac_f64_e32 v[212:213], s[0:1], v[84:85]
	v_fmac_f64_e32 v[118:119], s[14:15], v[116:117]
	v_add_f64 v[124:125], v[124:125], v[126:127]
	v_fmac_f64_e32 v[212:213], s[2:3], v[116:117]
	v_fmac_f64_e32 v[118:119], s[8:9], v[124:125]
	;; [unrolled: 1-line block ×3, first 2 shown]
	v_add_f64 v[124:125], v[90:91], v[108:109]
	v_add_f64 v[2:3], v[86:87], v[90:91]
	v_fmac_f64_e32 v[86:87], -0.5, v[124:125]
	v_fma_f64 v[126:127], s[0:1], v[116:117], v[86:87]
	v_fmac_f64_e32 v[86:87], s[10:11], v[116:117]
	v_fmac_f64_e32 v[126:127], s[14:15], v[84:85]
	;; [unrolled: 1-line block ×3, first 2 shown]
	v_add_f64 v[84:85], v[88:89], v[92:93]
	v_add_f64 v[84:85], v[84:85], v[102:103]
	;; [unrolled: 1-line block ×7, first 2 shown]
	v_fma_f64 v[216:217], -0.5, v[84:85], v[88:89]
	v_add_f64 v[84:85], v[90:91], -v[108:109]
	v_add_f64 v[2:3], v[2:3], v[108:109]
	v_add_f64 v[124:125], v[100:101], -v[90:91]
	v_add_f64 v[140:141], v[104:105], -v[108:109]
	v_fma_f64 v[90:91], s[0:1], v[84:85], v[216:217]
	v_add_f64 v[100:101], v[100:101], -v[104:105]
	v_add_f64 v[104:105], v[92:93], -v[102:103]
	v_add_f64 v[108:109], v[110:111], -v[106:107]
	v_fmac_f64_e32 v[216:217], s[10:11], v[84:85]
	v_fmac_f64_e32 v[90:91], s[2:3], v[100:101]
	v_add_f64 v[104:105], v[104:105], v[108:109]
	v_fmac_f64_e32 v[216:217], s[14:15], v[100:101]
	v_fmac_f64_e32 v[90:91], s[8:9], v[104:105]
	v_fmac_f64_e32 v[216:217], s[8:9], v[104:105]
	v_add_f64 v[104:105], v[92:93], v[110:111]
	v_fmac_f64_e32 v[88:89], -0.5, v[104:105]
	v_fma_f64 v[104:105], s[10:11], v[100:101], v[88:89]
	v_add_f64 v[92:93], v[102:103], -v[92:93]
	v_add_f64 v[102:103], v[106:107], -v[110:111]
	v_fmac_f64_e32 v[88:89], s[0:1], v[100:101]
	v_add_f64 v[92:93], v[92:93], v[102:103]
	v_fmac_f64_e32 v[88:89], s[14:15], v[84:85]
	v_add_f64 v[124:125], v[124:125], v[140:141]
	v_fmac_f64_e32 v[88:89], s[8:9], v[92:93]
	v_fmac_f64_e32 v[86:87], s[8:9], v[124:125]
	v_mul_f64 v[230:231], v[88:89], s[16:17]
	v_fmac_f64_e32 v[230:231], s[0:1], v[86:87]
	v_add_f64 v[0:1], v[0:1], v[142:143]
	v_add_f64 v[142:143], v[98:99], v[230:231]
	v_add_f64 v[98:99], v[98:99], -v[230:231]
	buffer_load_dword v230, off, s[24:27], 0 ; 4-byte Folded Reload
	v_fmac_f64_e32 v[104:105], s[2:3], v[84:85]
	v_fmac_f64_e32 v[104:105], s[8:9], v[92:93]
	;; [unrolled: 1-line block ×3, first 2 shown]
	v_mul_f64 v[100:101], v[90:91], s[14:15]
	v_mul_f64 v[102:103], v[104:105], s[10:11]
	;; [unrolled: 1-line block ×5, first 2 shown]
	v_add_f64 v[0:1], v[0:1], v[234:235]
	v_fmac_f64_e32 v[100:101], s[18:19], v[118:119]
	v_fmac_f64_e32 v[102:103], s[8:9], v[126:127]
	;; [unrolled: 1-line block ×3, first 2 shown]
	v_mul_f64 v[218:219], v[216:217], s[14:15]
	v_fmac_f64_e32 v[220:221], s[18:19], v[90:91]
	v_fmac_f64_e32 v[222:223], s[0:1], v[126:127]
	v_mul_f64 v[216:217], v[216:217], s[20:21]
	v_add_f64 v[108:109], v[94:95], v[2:3]
	v_add_f64 v[116:117], v[208:209], v[100:101]
	;; [unrolled: 1-line block ×4, first 2 shown]
	v_fmac_f64_e32 v[218:219], s[20:21], v[212:213]
	v_add_f64 v[110:111], v[0:1], v[214:215]
	v_add_f64 v[118:119], v[6:7], v[220:221]
	;; [unrolled: 1-line block ×3, first 2 shown]
	v_fmac_f64_e32 v[216:217], s[2:3], v[212:213]
	v_add_f64 v[84:85], v[204:205], v[218:219]
	v_add_f64 v[86:87], v[206:207], v[216:217]
	v_add_f64 v[92:93], v[94:95], -v[2:3]
	v_add_f64 v[88:89], v[208:209], -v[100:101]
	;; [unrolled: 1-line block ×9, first 2 shown]
	s_waitcnt lgkmcnt(0)
	; wave barrier
	ds_write_b128 v226, v[120:123]
	ds_write_b128 v226, v[128:131] offset:16
	ds_write_b128 v226, v[132:135] offset:32
	ds_write_b128 v226, v[136:139] offset:48
	ds_write_b128 v226, v[160:163] offset:64
	ds_write_b128 v226, v[164:167] offset:80
	ds_write_b128 v226, v[156:159] offset:96
	ds_write_b128 v226, v[152:155] offset:112
	ds_write_b128 v226, v[148:151] offset:128
	ds_write_b128 v226, v[144:147] offset:144
	ds_write_b128 v225, v[172:175]
	ds_write_b128 v225, v[176:179] offset:16
	ds_write_b128 v225, v[180:183] offset:32
	ds_write_b128 v225, v[184:187] offset:48
	ds_write_b128 v225, v[188:191] offset:64
	ds_write_b128 v225, v[200:203] offset:80
	ds_write_b128 v225, v[196:199] offset:96
	ds_write_b128 v225, v[192:195] offset:112
	ds_write_b128 v225, v[168:171] offset:128
	ds_write_b128 v225, v[112:115] offset:144
	;; [unrolled: 10-line block ×3, first 2 shown]
	s_waitcnt lgkmcnt(0)
	; wave barrier
	s_waitcnt vmcnt(0) lgkmcnt(0)
	ds_read_b128 v[116:119], v230
	ds_read_b128 v[112:115], v224 offset:256
	ds_read_b128 v[188:191], v224 offset:1920
	;; [unrolled: 1-line block ×23, first 2 shown]
	s_and_saveexec_b64 s[0:1], vcc
	s_cbranch_execz .LBB0_7
; %bb.6:
	ds_read_b128 v[84:87], v224 offset:768
	ds_read_b128 v[92:95], v224 offset:1728
	ds_read_b128 v[88:91], v224 offset:2688
	ds_read_b128 v[100:103], v224 offset:3648
	ds_read_b128 v[96:99], v224 offset:4608
	ds_read_b128 v[104:107], v224 offset:5568
	ds_read_b128 a[252:255], v224 offset:6528
	ds_read_b128 v[240:243], v224 offset:7488
.LBB0_7:
	s_or_b64 exec, exec, s[0:1]
	v_accvgpr_read_b32 v4, a176
	v_accvgpr_read_b32 v6, a178
	;; [unrolled: 1-line block ×4, first 2 shown]
	s_waitcnt lgkmcnt(14)
	v_mul_f64 v[0:1], v[6:7], v[202:203]
	v_mul_f64 v[2:3], v[6:7], v[200:201]
	v_fmac_f64_e32 v[0:1], v[4:5], v[200:201]
	v_fma_f64 v[2:3], v[4:5], v[202:203], -v[2:3]
	v_accvgpr_read_b32 v203, a175
	v_accvgpr_read_b32 v202, a174
	;; [unrolled: 1-line block ×4, first 2 shown]
	v_mul_f64 v[4:5], v[202:203], v[190:191]
	v_mul_f64 v[6:7], v[202:203], v[188:189]
	v_fmac_f64_e32 v[4:5], v[200:201], v[188:189]
	v_fma_f64 v[6:7], v[200:201], v[190:191], -v[6:7]
	v_accvgpr_read_b32 v203, a171
	v_accvgpr_read_b32 v202, a170
	;; [unrolled: 1-line block ×4, first 2 shown]
	s_waitcnt lgkmcnt(11)
	v_mul_f64 v[188:189], v[202:203], v[198:199]
	v_mul_f64 v[190:191], v[202:203], v[196:197]
	v_fmac_f64_e32 v[188:189], v[200:201], v[196:197]
	v_fma_f64 v[190:191], v[200:201], v[198:199], -v[190:191]
	v_accvgpr_read_b32 v201, a167
	v_accvgpr_read_b32 v200, a166
	;; [unrolled: 1-line block ×4, first 2 shown]
	v_mul_f64 v[196:197], v[200:201], v[182:183]
	v_fmac_f64_e32 v[196:197], v[198:199], v[180:181]
	v_mul_f64 v[180:181], v[200:201], v[180:181]
	v_fma_f64 v[180:181], v[198:199], v[182:183], -v[180:181]
	v_accvgpr_read_b32 v201, a187
	v_accvgpr_read_b32 v200, a186
	;; [unrolled: 1-line block ×4, first 2 shown]
	s_waitcnt lgkmcnt(7)
	v_mul_f64 v[182:183], v[200:201], v[194:195]
	v_fmac_f64_e32 v[182:183], v[198:199], v[192:193]
	v_mul_f64 v[192:193], v[200:201], v[192:193]
	v_fma_f64 v[192:193], v[198:199], v[194:195], -v[192:193]
	v_accvgpr_read_b32 v201, a191
	v_accvgpr_read_b32 v200, a190
	;; [unrolled: 1-line block ×4, first 2 shown]
	v_mul_f64 v[194:195], v[200:201], v[178:179]
	v_fmac_f64_e32 v[194:195], v[198:199], v[176:177]
	v_mul_f64 v[176:177], v[200:201], v[176:177]
	v_fma_f64 v[176:177], v[198:199], v[178:179], -v[176:177]
	v_accvgpr_read_b32 v201, a195
	v_accvgpr_read_b32 v200, a194
	;; [unrolled: 1-line block ×4, first 2 shown]
	s_waitcnt lgkmcnt(3)
	v_mul_f64 v[178:179], v[200:201], v[186:187]
	v_fmac_f64_e32 v[178:179], v[198:199], v[184:185]
	v_mul_f64 v[184:185], v[200:201], v[184:185]
	v_fma_f64 v[184:185], v[198:199], v[186:187], -v[184:185]
	v_accvgpr_read_b32 v198, a208
	v_accvgpr_read_b32 v200, a210
	v_accvgpr_read_b32 v201, a211
	v_accvgpr_read_b32 v199, a209
	v_mul_f64 v[186:187], v[200:201], v[174:175]
	v_fmac_f64_e32 v[186:187], v[198:199], v[172:173]
	v_mul_f64 v[172:173], v[200:201], v[172:173]
	v_fma_f64 v[172:173], v[198:199], v[174:175], -v[172:173]
	v_accvgpr_read_b32 v198, a204
	v_accvgpr_read_b32 v200, a206
	v_accvgpr_read_b32 v201, a207
	v_accvgpr_read_b32 v199, a205
	;; [unrolled: 8-line block ×7, first 2 shown]
	s_waitcnt lgkmcnt(1)
	v_mul_f64 v[150:151], v[200:201], v[158:159]
	v_fmac_f64_e32 v[150:151], v[198:199], v[156:157]
	v_mul_f64 v[156:157], v[200:201], v[156:157]
	v_accvgpr_read_b32 v200, a232
	v_accvgpr_read_b32 v202, a234
	v_accvgpr_read_b32 v203, a235
	v_fma_f64 v[156:157], v[198:199], v[158:159], -v[156:157]
	v_accvgpr_read_b32 v201, a233
	v_mul_f64 v[198:199], v[202:203], v[146:147]
	v_fmac_f64_e32 v[198:199], v[200:201], v[144:145]
	v_mul_f64 v[144:145], v[202:203], v[144:145]
	v_fma_f64 v[200:201], v[200:201], v[146:147], -v[144:145]
	v_accvgpr_read_b32 v144, a228
	v_accvgpr_read_b32 v146, a230
	v_accvgpr_read_b32 v147, a231
	v_accvgpr_read_b32 v145, a229
	v_mul_f64 v[202:203], v[146:147], v[142:143]
	v_fmac_f64_e32 v[202:203], v[144:145], v[140:141]
	v_mul_f64 v[140:141], v[146:147], v[140:141]
	v_fma_f64 v[204:205], v[144:145], v[142:143], -v[140:141]
	v_accvgpr_read_b32 v140, a224
	v_accvgpr_read_b32 v142, a226
	v_accvgpr_read_b32 v143, a227
	;; [unrolled: 8-line block ×6, first 2 shown]
	v_accvgpr_read_b32 v125, a249
	s_waitcnt lgkmcnt(0)
	v_mul_f64 v[222:223], v[126:127], v[122:123]
	v_fmac_f64_e32 v[222:223], v[124:125], v[120:121]
	v_mul_f64 v[120:121], v[126:127], v[120:121]
	v_fma_f64 v[226:227], v[124:125], v[122:123], -v[120:121]
	v_add_f64 v[120:121], v[116:117], -v[196:197]
	v_add_f64 v[122:123], v[118:119], -v[180:181]
	;; [unrolled: 1-line block ×8, first 2 shown]
	v_fma_f64 v[116:117], v[116:117], 2.0, -v[120:121]
	v_fma_f64 v[118:119], v[118:119], 2.0, -v[122:123]
	;; [unrolled: 1-line block ×8, first 2 shown]
	v_add_f64 v[144:145], v[120:121], v[126:127]
	v_add_f64 v[178:179], v[128:129], v[134:135]
	s_mov_b32 s0, 0x667f3bcd
	v_add_f64 v[4:5], v[116:117], -v[4:5]
	v_add_f64 v[6:7], v[118:119], -v[6:7]
	;; [unrolled: 1-line block ×3, first 2 shown]
	v_fma_f64 v[158:159], v[120:121], 2.0, -v[144:145]
	v_add_f64 v[136:137], v[0:1], -v[136:137]
	v_add_f64 v[138:139], v[2:3], -v[138:139]
	v_add_f64 v[180:181], v[130:131], -v[132:133]
	v_fma_f64 v[128:129], v[128:129], 2.0, -v[178:179]
	s_mov_b32 s1, 0xbfe6a09e
	v_fma_f64 v[140:141], v[116:117], 2.0, -v[4:5]
	v_fma_f64 v[142:143], v[118:119], 2.0, -v[6:7]
	;; [unrolled: 1-line block ×6, first 2 shown]
	v_fma_f64 v[120:121], s[0:1], v[128:129], v[158:159]
	s_mov_b32 s3, 0x3fe6a09e
	s_mov_b32 s2, s0
	v_add_f64 v[116:117], v[140:141], -v[0:1]
	v_add_f64 v[118:119], v[142:143], -v[2:3]
	v_fma_f64 v[122:123], s[0:1], v[130:131], v[176:177]
	v_fmac_f64_e32 v[120:121], s[2:3], v[130:131]
	v_add_f64 v[132:133], v[4:5], v[138:139]
	v_add_f64 v[0:1], v[112:113], -v[170:171]
	v_fma_f64 v[126:127], v[142:143], 2.0, -v[118:119]
	v_fmac_f64_e32 v[122:123], s[0:1], v[128:129]
	v_fma_f64 v[128:129], v[158:159], 2.0, -v[120:121]
	v_add_f64 v[134:135], v[6:7], -v[136:137]
	v_fma_f64 v[136:137], v[4:5], 2.0, -v[132:133]
	v_fma_f64 v[142:143], s[2:3], v[180:181], v[146:147]
	v_add_f64 v[2:3], v[114:115], -v[152:153]
	v_fma_f64 v[4:5], v[112:113], 2.0, -v[0:1]
	v_add_f64 v[112:113], v[174:175], -v[166:167]
	v_add_f64 v[158:159], v[172:173], -v[164:165]
	;; [unrolled: 1-line block ×3, first 2 shown]
	v_fma_f64 v[124:125], v[140:141], 2.0, -v[116:117]
	v_fma_f64 v[138:139], v[6:7], 2.0, -v[134:135]
	v_fma_f64 v[140:141], s[2:3], v[178:179], v[144:145]
	v_fmac_f64_e32 v[142:143], s[0:1], v[178:179]
	v_fma_f64 v[6:7], v[114:115], 2.0, -v[2:3]
	v_add_f64 v[114:115], v[160:161], -v[148:149]
	v_fma_f64 v[148:149], v[174:175], 2.0, -v[112:113]
	v_add_f64 v[154:155], v[186:187], -v[154:155]
	v_add_f64 v[156:157], v[168:169], -v[156:157]
	;; [unrolled: 1-line block ×4, first 2 shown]
	v_fma_f64 v[130:131], v[176:177], 2.0, -v[122:123]
	v_fma_f64 v[152:153], v[160:161], 2.0, -v[114:115]
	;; [unrolled: 1-line block ×4, first 2 shown]
	v_add_f64 v[172:173], v[0:1], v[114:115]
	v_fma_f64 v[2:3], v[2:3], 2.0, -v[174:175]
	v_add_f64 v[176:177], v[154:155], v[156:157]
	v_fma_f64 v[158:159], v[158:159], 2.0, -v[178:179]
	v_fma_f64 v[160:161], v[186:187], 2.0, -v[154:155]
	;; [unrolled: 1-line block ×3, first 2 shown]
	v_add_f64 v[170:171], v[6:7], -v[152:153]
	v_fma_f64 v[0:1], v[0:1], 2.0, -v[172:173]
	v_add_f64 v[166:167], v[164:165], -v[166:167]
	v_fma_f64 v[156:157], v[154:155], 2.0, -v[176:177]
	v_fma_f64 v[154:155], s[0:1], v[158:159], v[2:3]
	v_add_f64 v[168:169], v[4:5], -v[148:149]
	v_fma_f64 v[6:7], v[6:7], 2.0, -v[170:171]
	v_add_f64 v[162:163], v[160:161], -v[162:163]
	v_fma_f64 v[114:115], v[164:165], 2.0, -v[166:167]
	v_fma_f64 v[152:153], s[0:1], v[156:157], v[0:1]
	v_fmac_f64_e32 v[154:155], s[0:1], v[156:157]
	v_fmac_f64_e32 v[140:141], s[2:3], v[180:181]
	v_fma_f64 v[4:5], v[4:5], 2.0, -v[168:169]
	v_fma_f64 v[112:113], v[160:161], 2.0, -v[162:163]
	v_add_f64 v[114:115], v[6:7], -v[114:115]
	v_fmac_f64_e32 v[152:153], s[2:3], v[158:159]
	v_fma_f64 v[158:159], v[2:3], 2.0, -v[154:155]
	v_add_f64 v[160:161], v[168:169], v[166:167]
	v_add_f64 v[2:3], v[110:111], -v[212:213]
	v_add_f64 v[180:181], v[198:199], -v[214:215]
	;; [unrolled: 1-line block ×4, first 2 shown]
	v_fma_f64 v[150:151], v[6:7], 2.0, -v[114:115]
	v_fma_f64 v[156:157], v[0:1], 2.0, -v[152:153]
	v_add_f64 v[162:163], v[170:171], -v[162:163]
	v_fma_f64 v[164:165], v[168:169], 2.0, -v[160:161]
	v_fma_f64 v[168:169], s[2:3], v[176:177], v[172:173]
	v_add_f64 v[0:1], v[108:109], -v[210:211]
	v_fma_f64 v[6:7], v[110:111], 2.0, -v[2:3]
	v_add_f64 v[110:111], v[204:205], -v[220:221]
	v_add_f64 v[182:183], v[200:201], -v[216:217]
	v_fma_f64 v[184:185], v[198:199], 2.0, -v[180:181]
	v_add_f64 v[190:191], v[208:209], -v[226:227]
	v_fma_f64 v[192:193], v[206:207], 2.0, -v[188:189]
	v_fma_f64 v[148:149], v[4:5], 2.0, -v[112:113]
	;; [unrolled: 1-line block ×3, first 2 shown]
	v_fma_f64 v[170:171], s[2:3], v[178:179], v[174:175]
	v_fmac_f64_e32 v[168:169], s[2:3], v[178:179]
	v_fma_f64 v[4:5], v[108:109], 2.0, -v[0:1]
	v_add_f64 v[108:109], v[202:203], -v[218:219]
	v_fma_f64 v[178:179], v[204:205], 2.0, -v[110:111]
	v_fma_f64 v[186:187], v[200:201], 2.0, -v[182:183]
	;; [unrolled: 1-line block ×3, first 2 shown]
	v_add_f64 v[200:201], v[0:1], v[110:111]
	v_add_f64 v[192:193], v[184:185], -v[192:193]
	v_add_f64 v[204:205], v[180:181], v[190:191]
	v_fmac_f64_e32 v[170:171], s[0:1], v[176:177]
	v_fma_f64 v[176:177], v[202:203], 2.0, -v[108:109]
	v_add_f64 v[202:203], v[2:3], -v[108:109]
	v_fma_f64 v[0:1], v[0:1], 2.0, -v[200:201]
	v_add_f64 v[194:195], v[186:187], -v[194:195]
	;; [unrolled: 2-line block ×4, first 2 shown]
	v_add_f64 v[198:199], v[6:7], -v[178:179]
	v_fma_f64 v[2:3], v[2:3], 2.0, -v[202:203]
	v_fma_f64 v[110:111], v[186:187], 2.0, -v[194:195]
	;; [unrolled: 1-line block ×3, first 2 shown]
	v_fma_f64 v[180:181], s[0:1], v[184:185], v[0:1]
	v_fma_f64 v[4:5], v[4:5], 2.0, -v[196:197]
	v_fma_f64 v[6:7], v[6:7], 2.0, -v[198:199]
	v_fma_f64 v[182:183], s[0:1], v[186:187], v[2:3]
	v_fmac_f64_e32 v[180:181], s[2:3], v[186:187]
	v_add_f64 v[188:189], v[196:197], v[194:195]
	v_add_f64 v[190:191], v[198:199], -v[192:193]
	v_add_f64 v[108:109], v[4:5], -v[108:109]
	;; [unrolled: 1-line block ×3, first 2 shown]
	v_fmac_f64_e32 v[182:183], s[0:1], v[184:185]
	v_fma_f64 v[184:185], v[0:1], 2.0, -v[180:181]
	v_fma_f64 v[192:193], v[196:197], 2.0, -v[188:189]
	;; [unrolled: 1-line block ×3, first 2 shown]
	v_fma_f64 v[196:197], s[2:3], v[204:205], v[200:201]
	v_fma_f64 v[198:199], s[2:3], v[206:207], v[202:203]
	v_accvgpr_read_b32 v0, a139
	v_fma_f64 v[144:145], v[144:145], 2.0, -v[140:141]
	v_fma_f64 v[146:147], v[146:147], 2.0, -v[142:143]
	;; [unrolled: 1-line block ×6, first 2 shown]
	v_fmac_f64_e32 v[196:197], s[2:3], v[206:207]
	v_fmac_f64_e32 v[198:199], s[0:1], v[204:205]
	s_waitcnt lgkmcnt(0)
	; wave barrier
	ds_write_b128 v0, v[124:127]
	ds_write_b128 v0, v[128:131] offset:160
	ds_write_b128 v0, v[136:139] offset:320
	;; [unrolled: 1-line block ×7, first 2 shown]
	ds_write_b128 v229, v[148:151]
	ds_write_b128 v229, v[156:159] offset:160
	ds_write_b128 v229, v[164:167] offset:320
	;; [unrolled: 1-line block ×7, first 2 shown]
	v_accvgpr_read_b32 v0, a83
	v_fma_f64 v[186:187], v[2:3], 2.0, -v[182:183]
	v_fma_f64 v[200:201], v[200:201], 2.0, -v[196:197]
	;; [unrolled: 1-line block ×3, first 2 shown]
	ds_write_b128 v0, v[176:179]
	ds_write_b128 v0, v[184:187] offset:160
	ds_write_b128 v0, v[192:195] offset:320
	;; [unrolled: 1-line block ×7, first 2 shown]
	s_and_saveexec_b64 s[8:9], vcc
	s_cbranch_execz .LBB0_9
; %bb.8:
	v_accvgpr_read_b32 v130, a148
	v_accvgpr_read_b32 v132, a150
	;; [unrolled: 1-line block ×5, first 2 shown]
	v_mul_f64 v[108:109], v[132:133], v[92:93]
	v_accvgpr_read_b32 v140, a158
	v_accvgpr_read_b32 v141, a159
	;; [unrolled: 1-line block ×7, first 2 shown]
	v_fma_f64 v[110:111], v[130:131], v[94:95], -v[108:109]
	v_accvgpr_read_b32 v139, a157
	v_mul_f64 v[108:109], v[140:141], v[104:105]
	v_accvgpr_read_b32 v128, a146
	v_accvgpr_read_b32 v129, a147
	;; [unrolled: 1-line block ×11, first 2 shown]
	v_fma_f64 v[108:109], v[138:139], v[106:107], -v[108:109]
	v_accvgpr_read_b32 v127, a145
	v_mul_f64 v[114:115], v[128:129], v[102:103]
	v_accvgpr_read_b32 v148, a182
	v_accvgpr_read_b32 v149, a183
	;; [unrolled: 1-line block ×3, first 2 shown]
	v_mul_f64 v[0:1], v[136:137], v[96:97]
	v_accvgpr_read_b32 v123, a141
	v_mul_f64 v[2:3], v[124:125], v[90:91]
	v_accvgpr_read_b32 v143, a161
	v_accvgpr_read_b32 v151, a253
	v_mul_f64 v[4:5], v[144:145], v[152:153]
	v_add_f64 v[112:113], v[110:111], -v[108:109]
	v_fmac_f64_e32 v[114:115], v[126:127], v[100:101]
	v_accvgpr_read_b32 v147, a181
	v_mul_f64 v[108:109], v[148:149], v[242:243]
	v_mul_f64 v[100:101], v[128:129], v[100:101]
	;; [unrolled: 1-line block ×3, first 2 shown]
	v_fma_f64 v[0:1], v[134:135], v[98:99], -v[0:1]
	v_fmac_f64_e32 v[2:3], v[122:123], v[88:89]
	v_fmac_f64_e32 v[4:5], v[142:143], v[150:151]
	;; [unrolled: 1-line block ×3, first 2 shown]
	v_fma_f64 v[100:101], v[126:127], v[102:103], -v[100:101]
	v_mul_f64 v[102:103], v[148:149], v[240:241]
	v_fmac_f64_e32 v[94:95], v[130:131], v[92:93]
	v_mul_f64 v[92:93], v[140:141], v[106:107]
	v_mul_f64 v[88:89], v[124:125], v[88:89]
	v_add_f64 v[0:1], v[86:87], -v[0:1]
	v_add_f64 v[4:5], v[2:3], -v[4:5]
	;; [unrolled: 1-line block ×3, first 2 shown]
	v_fma_f64 v[102:103], v[146:147], v[242:243], -v[102:103]
	v_fmac_f64_e32 v[92:93], v[138:139], v[104:105]
	v_fma_f64 v[88:89], v[122:123], v[90:91], -v[88:89]
	v_mul_f64 v[90:91], v[144:145], v[150:151]
	v_add_f64 v[6:7], v[0:1], -v[4:5]
	v_add_f64 v[118:119], v[112:113], -v[116:117]
	;; [unrolled: 1-line block ×4, first 2 shown]
	v_fma_f64 v[90:91], v[142:143], v[152:153], -v[90:91]
	v_fma_f64 v[108:109], s[2:3], v[118:119], v[6:7]
	v_add_f64 v[120:121], v[102:103], v[104:105]
	v_add_f64 v[122:123], v[88:89], -v[90:91]
	v_mul_f64 v[90:91], v[136:137], v[98:99]
	v_fmac_f64_e32 v[108:109], s[0:1], v[120:121]
	v_fmac_f64_e32 v[90:91], v[134:135], v[96:97]
	v_fma_f64 v[92:93], v[6:7], 2.0, -v[108:109]
	v_add_f64 v[98:99], v[84:85], -v[90:91]
	v_fma_f64 v[126:127], v[86:87], 2.0, -v[0:1]
	v_fma_f64 v[0:1], v[0:1], 2.0, -v[6:7]
	v_fma_f64 v[6:7], v[112:113], 2.0, -v[118:119]
	v_fma_f64 v[128:129], v[84:85], 2.0, -v[98:99]
	v_fma_f64 v[84:85], v[100:101], 2.0, -v[102:103]
	v_fma_f64 v[100:101], s[0:1], v[6:7], v[0:1]
	v_fma_f64 v[102:103], v[104:105], 2.0, -v[120:121]
	v_add_f64 v[124:125], v[122:123], v[98:99]
	v_fmac_f64_e32 v[100:101], s[0:1], v[102:103]
	v_fma_f64 v[86:87], v[88:89], 2.0, -v[122:123]
	v_fma_f64 v[122:123], v[94:95], 2.0, -v[104:105]
	;; [unrolled: 1-line block ×6, first 2 shown]
	v_fma_f64 v[98:99], s[0:1], v[102:103], v[0:1]
	v_add_f64 v[88:89], v[126:127], -v[86:87]
	v_add_f64 v[110:111], v[4:5], -v[84:85]
	v_fmac_f64_e32 v[98:99], s[2:3], v[6:7]
	v_fma_f64 v[86:87], v[114:115], 2.0, -v[116:117]
	v_add_f64 v[2:3], v[128:129], -v[2:3]
	v_fma_f64 v[102:103], v[0:1], 2.0, -v[98:99]
	v_fma_f64 v[0:1], v[126:127], 2.0, -v[88:89]
	;; [unrolled: 1-line block ×3, first 2 shown]
	v_add_f64 v[114:115], v[122:123], -v[86:87]
	v_add_f64 v[84:85], v[2:3], v[110:111]
	v_add_f64 v[112:113], v[0:1], -v[4:5]
	v_fma_f64 v[94:95], v[2:3], 2.0, -v[84:85]
	v_fma_f64 v[116:117], v[0:1], 2.0, -v[112:113]
	v_fma_f64 v[0:1], v[128:129], 2.0, -v[2:3]
	v_fma_f64 v[2:3], v[122:123], 2.0, -v[114:115]
	v_add_f64 v[110:111], v[0:1], -v[2:3]
	v_add_f64 v[86:87], v[88:89], -v[114:115]
	v_fma_f64 v[114:115], v[0:1], 2.0, -v[110:111]
	s_movk_i32 s0, 0x50
	v_accvgpr_read_b32 v0, a137
	v_mul_u32_u24_sdwa v0, v0, s0 dst_sel:DWORD dst_unused:UNUSED_PAD src0_sel:BYTE_1 src1_sel:DWORD
	v_accvgpr_read_b32 v1, a138
	v_fma_f64 v[106:107], s[2:3], v[120:121], v[124:125]
	v_or_b32_e32 v0, v0, v1
	v_accvgpr_read_b32 v1, a45
	v_fmac_f64_e32 v[106:107], s[2:3], v[118:119]
	v_add_lshl_u32 v0, v1, v0, 4
	v_fma_f64 v[90:91], v[124:125], 2.0, -v[106:107]
	v_fma_f64 v[96:97], v[88:89], 2.0, -v[86:87]
	ds_write_b128 v0, v[114:117]
	ds_write_b128 v0, v[102:105] offset:160
	ds_write_b128 v0, v[94:97] offset:320
	;; [unrolled: 1-line block ×7, first 2 shown]
.LBB0_9:
	s_or_b64 exec, exec, s[8:9]
	s_waitcnt lgkmcnt(0)
	; wave barrier
	s_waitcnt lgkmcnt(0)
	ds_read_b128 v[84:87], v224 offset:1280
	ds_read_b128 v[88:91], v224 offset:2560
	;; [unrolled: 1-line block ×3, first 2 shown]
	v_accvgpr_read_b32 v5, a3
	v_accvgpr_read_b32 v4, a2
	;; [unrolled: 1-line block ×4, first 2 shown]
	s_waitcnt lgkmcnt(2)
	v_mul_f64 v[104:105], v[4:5], v[86:87]
	v_mul_f64 v[0:1], v[4:5], v[84:85]
	v_fmac_f64_e32 v[104:105], v[2:3], v[84:85]
	v_fma_f64 v[110:111], v[2:3], v[86:87], -v[0:1]
	v_accvgpr_read_b32 v2, a132
	ds_read_b128 v[84:87], v224 offset:3840
	ds_read_b128 v[106:109], v224 offset:3584
	v_accvgpr_read_b32 v4, a134
	v_accvgpr_read_b32 v5, a135
	;; [unrolled: 1-line block ×3, first 2 shown]
	s_waitcnt lgkmcnt(3)
	v_mul_f64 v[114:115], v[4:5], v[90:91]
	v_mul_f64 v[0:1], v[4:5], v[88:89]
	v_fmac_f64_e32 v[114:115], v[2:3], v[88:89]
	v_fma_f64 v[116:117], v[2:3], v[90:91], -v[0:1]
	v_accvgpr_read_b32 v2, a128
	ds_read_b128 v[88:91], v224 offset:5120
	ds_read_b128 v[100:103], v224 offset:1536
	v_accvgpr_read_b32 v4, a130
	v_accvgpr_read_b32 v5, a131
	;; [unrolled: 1-line block ×3, first 2 shown]
	s_waitcnt lgkmcnt(3)
	v_mul_f64 v[128:129], v[4:5], v[86:87]
	v_mul_f64 v[0:1], v[4:5], v[84:85]
	v_fmac_f64_e32 v[128:129], v[2:3], v[84:85]
	v_fma_f64 v[130:131], v[2:3], v[86:87], -v[0:1]
	ds_read_b128 v[96:99], v224 offset:6400
	v_accvgpr_read_b32 v2, a124
	v_accvgpr_read_b32 v4, a126
	;; [unrolled: 1-line block ×4, first 2 shown]
	s_waitcnt lgkmcnt(2)
	v_mul_f64 v[84:85], v[4:5], v[90:91]
	v_mul_f64 v[0:1], v[4:5], v[88:89]
	v_fmac_f64_e32 v[84:85], v[2:3], v[88:89]
	v_fma_f64 v[86:87], v[2:3], v[90:91], -v[0:1]
	v_accvgpr_read_b32 v2, a4
	v_accvgpr_read_b32 v4, a6
	;; [unrolled: 1-line block ×4, first 2 shown]
	s_waitcnt lgkmcnt(0)
	v_mul_f64 v[88:89], v[4:5], v[98:99]
	v_mul_f64 v[0:1], v[4:5], v[96:97]
	;; [unrolled: 1-line block ×4, first 2 shown]
	v_fmac_f64_e32 v[88:89], v[2:3], v[96:97]
	v_fma_f64 v[90:91], v[2:3], v[98:99], -v[0:1]
	ds_read_b128 v[0:3], v224 offset:5376
	v_fmac_f64_e32 v[120:121], v[16:17], v[100:101]
	v_fma_f64 v[122:123], v[16:17], v[102:103], -v[4:5]
	ds_read_b128 v[16:19], v224 offset:4096
	v_mul_f64 v[132:133], v[10:11], v[94:95]
	v_mul_f64 v[4:5], v[10:11], v[92:93]
	v_fmac_f64_e32 v[132:133], v[8:9], v[92:93]
	v_fma_f64 v[134:135], v[8:9], v[94:95], -v[4:5]
	v_accvgpr_read_b32 v95, a11
	v_accvgpr_read_b32 v94, a10
	;; [unrolled: 1-line block ×4, first 2 shown]
	s_waitcnt lgkmcnt(0)
	v_mul_f64 v[136:137], v[94:95], v[18:19]
	v_mul_f64 v[4:5], v[94:95], v[16:17]
	v_fmac_f64_e32 v[136:137], v[92:93], v[16:17]
	v_fma_f64 v[138:139], v[92:93], v[18:19], -v[4:5]
	v_mul_f64 v[92:93], v[14:15], v[2:3]
	ds_read_b128 v[4:7], v224 offset:6656
	v_fmac_f64_e32 v[92:93], v[12:13], v[0:1]
	v_mul_f64 v[0:1], v[14:15], v[0:1]
	v_fma_f64 v[94:95], v[12:13], v[2:3], -v[0:1]
	ds_read_b128 v[0:3], v224 offset:1792
	s_waitcnt lgkmcnt(1)
	v_mul_f64 v[96:97], v[26:27], v[6:7]
	v_fmac_f64_e32 v[96:97], v[24:25], v[4:5]
	v_mul_f64 v[4:5], v[26:27], v[4:5]
	v_fma_f64 v[98:99], v[24:25], v[6:7], -v[4:5]
	ds_read_b128 v[4:7], v224 offset:3072
	s_waitcnt lgkmcnt(1)
	v_mul_f64 v[16:17], v[34:35], v[2:3]
	v_fmac_f64_e32 v[16:17], v[32:33], v[0:1]
	v_mul_f64 v[0:1], v[34:35], v[0:1]
	ds_read_b128 v[8:11], v224 offset:6144
	v_fma_f64 v[18:19], v[32:33], v[2:3], -v[0:1]
	ds_read_b128 v[0:3], v224 offset:4352
	s_waitcnt lgkmcnt(2)
	v_mul_f64 v[124:125], v[22:23], v[6:7]
	v_fmac_f64_e32 v[124:125], v[20:21], v[4:5]
	v_mul_f64 v[4:5], v[22:23], v[4:5]
	v_fma_f64 v[126:127], v[20:21], v[6:7], -v[4:5]
	s_waitcnt lgkmcnt(0)
	v_mul_f64 v[20:21], v[38:39], v[2:3]
	v_fmac_f64_e32 v[20:21], v[36:37], v[0:1]
	v_mul_f64 v[0:1], v[38:39], v[0:1]
	v_fma_f64 v[22:23], v[36:37], v[2:3], -v[0:1]
	ds_read_b128 v[0:3], v224 offset:6912
	ds_read_b128 v[4:7], v224 offset:5632
	s_mov_b32 s0, 0xe8584caa
	s_mov_b32 s1, 0xbfebb67a
	;; [unrolled: 1-line block ×3, first 2 shown]
	s_waitcnt lgkmcnt(1)
	v_mul_f64 v[36:37], v[42:43], v[2:3]
	v_fmac_f64_e32 v[36:37], v[40:41], v[0:1]
	v_mul_f64 v[0:1], v[42:43], v[0:1]
	v_fma_f64 v[38:39], v[40:41], v[2:3], -v[0:1]
	ds_read_b128 v[0:3], v224 offset:3328
	s_waitcnt lgkmcnt(1)
	v_mul_f64 v[32:33], v[30:31], v[6:7]
	v_fmac_f64_e32 v[32:33], v[28:29], v[4:5]
	v_mul_f64 v[4:5], v[30:31], v[4:5]
	v_fma_f64 v[34:35], v[28:29], v[6:7], -v[4:5]
	s_waitcnt lgkmcnt(0)
	v_mul_f64 v[30:31], v[58:59], v[2:3]
	v_fmac_f64_e32 v[30:31], v[56:57], v[0:1]
	v_mul_f64 v[0:1], v[58:59], v[0:1]
	v_fma_f64 v[118:119], v[56:57], v[2:3], -v[0:1]
	ds_read_b128 v[0:3], v224 offset:5888
	ds_read_b128 v[4:7], v224 offset:2048
	s_mov_b32 s2, s0
	v_mul_f64 v[100:101], v[70:71], v[108:109]
	v_mul_f64 v[12:13], v[70:71], v[106:107]
	s_waitcnt lgkmcnt(1)
	v_mul_f64 v[40:41], v[50:51], v[2:3]
	v_fmac_f64_e32 v[40:41], v[48:49], v[0:1]
	v_mul_f64 v[0:1], v[50:51], v[0:1]
	v_fma_f64 v[42:43], v[48:49], v[2:3], -v[0:1]
	ds_read_b128 v[0:3], v224 offset:2304
	s_waitcnt lgkmcnt(1)
	v_mul_f64 v[24:25], v[54:55], v[6:7]
	v_fmac_f64_e32 v[24:25], v[52:53], v[4:5]
	v_mul_f64 v[4:5], v[54:55], v[4:5]
	v_fma_f64 v[26:27], v[52:53], v[6:7], -v[4:5]
	ds_read_b128 v[4:7], v224 offset:4608
	s_waitcnt lgkmcnt(1)
	v_mul_f64 v[56:57], v[78:79], v[2:3]
	v_fmac_f64_e32 v[56:57], v[76:77], v[0:1]
	v_mul_f64 v[0:1], v[78:79], v[0:1]
	v_mul_f64 v[48:49], v[62:63], v[10:11]
	s_waitcnt lgkmcnt(0)
	v_mul_f64 v[28:29], v[46:47], v[6:7]
	v_fmac_f64_e32 v[28:29], v[44:45], v[4:5]
	v_mul_f64 v[4:5], v[46:47], v[4:5]
	v_fma_f64 v[112:113], v[44:45], v[6:7], -v[4:5]
	ds_read_b128 v[4:7], v224 offset:7168
	v_fmac_f64_e32 v[48:49], v[60:61], v[8:9]
	v_mul_f64 v[8:9], v[62:63], v[8:9]
	v_fma_f64 v[52:53], v[60:61], v[10:11], -v[8:9]
	v_fmac_f64_e32 v[100:101], v[68:69], v[106:107]
	s_waitcnt lgkmcnt(0)
	v_mul_f64 v[44:45], v[74:75], v[6:7]
	v_fmac_f64_e32 v[44:45], v[72:73], v[4:5]
	v_mul_f64 v[4:5], v[74:75], v[4:5]
	v_fma_f64 v[46:47], v[72:73], v[6:7], -v[4:5]
	ds_read_b128 v[4:7], v224 offset:4864
	v_fma_f64 v[72:73], v[76:77], v[2:3], -v[0:1]
	ds_read_b128 v[0:3], v224 offset:7424
	v_fma_f64 v[102:103], v[68:69], v[108:109], -v[12:13]
	v_add_f64 v[68:69], v[104:105], v[128:129]
	s_waitcnt lgkmcnt(1)
	v_mul_f64 v[76:77], v[66:67], v[6:7]
	v_fmac_f64_e32 v[76:77], v[64:65], v[4:5]
	v_mul_f64 v[4:5], v[66:67], v[4:5]
	v_fma_f64 v[78:79], v[64:65], v[6:7], -v[4:5]
	ds_read_b128 v[4:7], v230
	s_waitcnt lgkmcnt(1)
	v_mul_f64 v[50:51], v[82:83], v[2:3]
	v_fmac_f64_e32 v[50:51], v[80:81], v[0:1]
	v_mul_f64 v[0:1], v[82:83], v[0:1]
	v_fma_f64 v[54:55], v[80:81], v[2:3], -v[0:1]
	v_add_f64 v[0:1], v[114:115], v[84:85]
	s_waitcnt lgkmcnt(0)
	v_add_f64 v[60:61], v[4:5], v[114:115]
	v_fmac_f64_e32 v[4:5], -0.5, v[0:1]
	v_add_f64 v[0:1], v[116:117], -v[86:87]
	v_fma_f64 v[58:59], s[0:1], v[0:1], v[4:5]
	v_fmac_f64_e32 v[4:5], s[2:3], v[0:1]
	v_add_f64 v[0:1], v[116:117], v[86:87]
	v_add_f64 v[64:65], v[6:7], v[116:117]
	v_fmac_f64_e32 v[6:7], -0.5, v[0:1]
	v_add_f64 v[0:1], v[114:115], -v[84:85]
	v_fma_f64 v[62:63], s[2:3], v[0:1], v[6:7]
	v_fmac_f64_e32 v[6:7], s[0:1], v[0:1]
	v_add_f64 v[0:1], v[128:129], v[88:89]
	v_fmac_f64_e32 v[104:105], -0.5, v[0:1]
	v_add_f64 v[0:1], v[130:131], -v[90:91]
	v_fma_f64 v[66:67], s[0:1], v[0:1], v[104:105]
	v_fmac_f64_e32 v[104:105], s[2:3], v[0:1]
	v_add_f64 v[0:1], v[130:131], v[90:91]
	v_add_f64 v[74:75], v[110:111], v[130:131]
	v_fmac_f64_e32 v[110:111], -0.5, v[0:1]
	v_add_f64 v[0:1], v[128:129], -v[88:89]
	v_fma_f64 v[70:71], s[2:3], v[0:1], v[110:111]
	v_fmac_f64_e32 v[110:111], s[0:1], v[0:1]
	v_mul_f64 v[8:9], v[110:111], s[0:1]
	v_mul_f64 v[10:11], v[110:111], -0.5
	v_fmac_f64_e32 v[8:9], -0.5, v[104:105]
	v_fmac_f64_e32 v[10:11], s[2:3], v[104:105]
	v_add_f64 v[0:1], v[4:5], v[8:9]
	v_add_f64 v[2:3], v[6:7], v[10:11]
	v_add_f64 v[4:5], v[4:5], -v[8:9]
	v_add_f64 v[6:7], v[6:7], -v[10:11]
	ds_read_b128 v[8:11], v224 offset:256
	v_add_f64 v[12:13], v[132:133], v[92:93]
	v_add_f64 v[110:111], v[120:121], v[136:137]
	;; [unrolled: 1-line block ×4, first 2 shown]
	s_waitcnt lgkmcnt(0)
	v_add_f64 v[82:83], v[8:9], v[132:133]
	v_fmac_f64_e32 v[8:9], -0.5, v[12:13]
	v_add_f64 v[12:13], v[134:135], -v[94:95]
	v_fma_f64 v[80:81], s[0:1], v[12:13], v[8:9]
	v_fmac_f64_e32 v[8:9], s[2:3], v[12:13]
	v_add_f64 v[12:13], v[134:135], v[94:95]
	v_add_f64 v[106:107], v[10:11], v[134:135]
	v_fmac_f64_e32 v[10:11], -0.5, v[12:13]
	v_add_f64 v[12:13], v[132:133], -v[92:93]
	v_fma_f64 v[104:105], s[2:3], v[12:13], v[10:11]
	v_fmac_f64_e32 v[10:11], s[0:1], v[12:13]
	v_add_f64 v[12:13], v[136:137], v[96:97]
	v_fmac_f64_e32 v[120:121], -0.5, v[12:13]
	v_add_f64 v[12:13], v[138:139], -v[98:99]
	v_fma_f64 v[108:109], s[0:1], v[12:13], v[120:121]
	v_fmac_f64_e32 v[120:121], s[2:3], v[12:13]
	v_add_f64 v[12:13], v[138:139], v[98:99]
	v_fmac_f64_e32 v[122:123], -0.5, v[12:13]
	v_add_f64 v[12:13], v[136:137], -v[96:97]
	ds_read_b128 v[136:139], v224 offset:512
	v_fma_f64 v[114:115], s[2:3], v[12:13], v[122:123]
	v_fmac_f64_e32 v[122:123], s[0:1], v[12:13]
	v_mul_f64 v[128:129], v[122:123], s[0:1]
	v_mul_f64 v[122:123], v[122:123], -0.5
	v_fmac_f64_e32 v[128:129], -0.5, v[120:121]
	v_fmac_f64_e32 v[122:123], s[2:3], v[120:121]
	v_add_f64 v[120:121], v[124:125], v[32:33]
	v_add_f64 v[12:13], v[8:9], v[128:129]
	;; [unrolled: 1-line block ×3, first 2 shown]
	v_add_f64 v[8:9], v[8:9], -v[128:129]
	v_add_f64 v[10:11], v[10:11], -v[122:123]
	s_waitcnt lgkmcnt(0)
	v_add_f64 v[122:123], v[136:137], v[124:125]
	v_fmac_f64_e32 v[136:137], -0.5, v[120:121]
	v_add_f64 v[128:129], v[126:127], -v[34:35]
	v_fma_f64 v[120:121], s[0:1], v[128:129], v[136:137]
	v_fmac_f64_e32 v[136:137], s[2:3], v[128:129]
	v_add_f64 v[128:129], v[138:139], v[126:127]
	v_add_f64 v[126:127], v[126:127], v[34:35]
	v_fmac_f64_e32 v[138:139], -0.5, v[126:127]
	v_add_f64 v[126:127], v[124:125], -v[32:33]
	v_fma_f64 v[124:125], s[2:3], v[126:127], v[138:139]
	v_fmac_f64_e32 v[138:139], s[0:1], v[126:127]
	v_add_f64 v[126:127], v[20:21], v[36:37]
	v_add_f64 v[132:133], v[22:23], -v[38:39]
	v_add_f64 v[134:135], v[18:19], v[22:23]
	v_add_f64 v[22:23], v[22:23], v[38:39]
	v_fmac_f64_e32 v[16:17], -0.5, v[126:127]
	v_fmac_f64_e32 v[18:19], -0.5, v[22:23]
	v_add_f64 v[20:21], v[20:21], -v[36:37]
	v_fma_f64 v[126:127], s[0:1], v[132:133], v[16:17]
	v_fmac_f64_e32 v[16:17], s[2:3], v[132:133]
	v_fma_f64 v[132:133], s[2:3], v[20:21], v[18:19]
	v_fmac_f64_e32 v[18:19], s[0:1], v[20:21]
	v_mul_f64 v[140:141], v[18:19], s[0:1]
	v_mul_f64 v[18:19], v[18:19], -0.5
	v_fmac_f64_e32 v[140:141], -0.5, v[16:17]
	v_fmac_f64_e32 v[18:19], s[2:3], v[16:17]
	v_add_f64 v[20:21], v[136:137], v[140:141]
	v_add_f64 v[22:23], v[138:139], v[18:19]
	v_add_f64 v[16:17], v[136:137], -v[140:141]
	v_add_f64 v[18:19], v[138:139], -v[18:19]
	ds_read_b128 v[136:139], v224 offset:768
	v_add_f64 v[142:143], v[30:31], v[40:41]
	v_add_f64 v[146:147], v[24:25], v[28:29]
	;; [unrolled: 1-line block ×4, first 2 shown]
	s_waitcnt lgkmcnt(0)
	v_add_f64 v[140:141], v[136:137], v[30:31]
	v_fmac_f64_e32 v[136:137], -0.5, v[142:143]
	v_add_f64 v[142:143], v[118:119], -v[42:43]
	v_fma_f64 v[144:145], s[0:1], v[142:143], v[136:137]
	v_fmac_f64_e32 v[136:137], s[2:3], v[142:143]
	v_add_f64 v[142:143], v[138:139], v[118:119]
	v_add_f64 v[118:119], v[118:119], v[42:43]
	v_fmac_f64_e32 v[138:139], -0.5, v[118:119]
	v_add_f64 v[30:31], v[30:31], -v[40:41]
	v_fma_f64 v[118:119], s[2:3], v[30:31], v[138:139]
	v_fmac_f64_e32 v[138:139], s[0:1], v[30:31]
	v_add_f64 v[30:31], v[28:29], v[44:45]
	v_fmac_f64_e32 v[24:25], -0.5, v[30:31]
	v_add_f64 v[30:31], v[112:113], -v[46:47]
	v_fma_f64 v[148:149], s[0:1], v[30:31], v[24:25]
	v_fmac_f64_e32 v[24:25], s[2:3], v[30:31]
	;; [unrolled: 5-line block ×3, first 2 shown]
	v_mul_f64 v[152:153], v[26:27], s[0:1]
	v_mul_f64 v[26:27], v[26:27], -0.5
	v_fmac_f64_e32 v[152:153], -0.5, v[24:25]
	v_fmac_f64_e32 v[26:27], s[2:3], v[24:25]
	v_add_f64 v[28:29], v[136:137], v[152:153]
	v_add_f64 v[30:31], v[138:139], v[26:27]
	v_add_f64 v[24:25], v[136:137], -v[152:153]
	v_add_f64 v[26:27], v[138:139], -v[26:27]
	ds_read_b128 v[136:139], v224 offset:1024
	v_add_f64 v[160:161], v[56:57], v[76:77]
	v_add_f64 v[164:165], v[72:73], v[78:79]
	;; [unrolled: 1-line block ×4, first 2 shown]
	s_waitcnt lgkmcnt(0)
	v_add_f64 v[152:153], v[136:137], v[100:101]
	v_fmac_f64_e32 v[136:137], -0.5, v[154:155]
	v_add_f64 v[154:155], v[102:103], -v[52:53]
	v_fma_f64 v[156:157], s[0:1], v[154:155], v[136:137]
	v_fmac_f64_e32 v[136:137], s[2:3], v[154:155]
	v_add_f64 v[154:155], v[138:139], v[102:103]
	v_add_f64 v[102:103], v[102:103], v[52:53]
	v_fmac_f64_e32 v[138:139], -0.5, v[102:103]
	v_add_f64 v[100:101], v[100:101], -v[48:49]
	v_fma_f64 v[158:159], s[2:3], v[100:101], v[138:139]
	v_fmac_f64_e32 v[138:139], s[0:1], v[100:101]
	v_add_f64 v[100:101], v[76:77], v[50:51]
	v_fmac_f64_e32 v[56:57], -0.5, v[100:101]
	v_add_f64 v[100:101], v[78:79], -v[54:55]
	v_add_f64 v[78:79], v[78:79], v[54:55]
	v_fmac_f64_e32 v[72:73], -0.5, v[78:79]
	v_add_f64 v[76:77], v[76:77], -v[50:51]
	v_fma_f64 v[166:167], s[2:3], v[76:77], v[72:73]
	v_fmac_f64_e32 v[72:73], s[0:1], v[76:77]
	v_fma_f64 v[162:163], s[0:1], v[100:101], v[56:57]
	v_fmac_f64_e32 v[56:57], s[2:3], v[100:101]
	v_mul_f64 v[100:101], v[72:73], s[0:1]
	v_mul_f64 v[72:73], v[72:73], -0.5
	v_fmac_f64_e32 v[100:101], -0.5, v[56:57]
	v_fmac_f64_e32 v[72:73], s[2:3], v[56:57]
	v_add_f64 v[56:57], v[60:61], v[84:85]
	v_add_f64 v[60:61], v[64:65], v[86:87]
	;; [unrolled: 1-line block ×5, first 2 shown]
	v_add_f64 v[102:103], v[138:139], -v[72:73]
	v_add_f64 v[72:73], v[56:57], v[64:65]
	v_add_f64 v[74:75], v[60:61], v[68:69]
	v_add_f64 v[84:85], v[56:57], -v[64:65]
	v_add_f64 v[86:87], v[60:61], -v[68:69]
	v_mul_f64 v[56:57], v[70:71], s[0:1]
	v_mul_f64 v[60:61], v[70:71], 0.5
	v_fmac_f64_e32 v[56:57], 0.5, v[66:67]
	v_fmac_f64_e32 v[60:61], s[2:3], v[66:67]
	v_add_f64 v[68:69], v[82:83], v[92:93]
	v_add_f64 v[82:83], v[110:111], v[96:97]
	;; [unrolled: 1-line block ×4, first 2 shown]
	v_add_f64 v[56:57], v[58:59], -v[56:57]
	v_add_f64 v[58:59], v[62:63], -v[60:61]
	v_add_f64 v[60:61], v[68:69], v[82:83]
	v_add_f64 v[68:69], v[68:69], -v[82:83]
	v_mul_f64 v[82:83], v[114:115], s[0:1]
	v_mul_f64 v[92:93], v[114:115], 0.5
	v_add_f64 v[70:71], v[106:107], v[94:95]
	v_add_f64 v[88:89], v[116:117], v[98:99]
	v_fmac_f64_e32 v[82:83], 0.5, v[108:109]
	v_fmac_f64_e32 v[92:93], s[2:3], v[108:109]
	v_add_f64 v[62:63], v[70:71], v[88:89]
	v_add_f64 v[70:71], v[70:71], -v[88:89]
	v_add_f64 v[88:89], v[80:81], v[82:83]
	v_add_f64 v[90:91], v[104:105], v[92:93]
	v_add_f64 v[80:81], v[80:81], -v[82:83]
	v_add_f64 v[82:83], v[104:105], -v[92:93]
	v_add_f64 v[92:93], v[130:131], v[36:37]
	v_add_f64 v[94:95], v[128:129], v[34:35]
	v_add_f64 v[34:35], v[32:33], v[92:93]
	v_add_f64 v[92:93], v[32:33], -v[92:93]
	v_mul_f64 v[32:33], v[132:133], s[0:1]
	v_add_f64 v[36:37], v[94:95], v[38:39]
	v_add_f64 v[94:95], v[94:95], -v[38:39]
	v_fmac_f64_e32 v[32:33], 0.5, v[126:127]
	v_mul_f64 v[38:39], v[132:133], 0.5
	v_fmac_f64_e32 v[38:39], s[2:3], v[126:127]
	v_add_f64 v[96:97], v[120:121], v[32:33]
	v_add_f64 v[104:105], v[120:121], -v[32:33]
	v_add_f64 v[32:33], v[140:141], v[40:41]
	v_add_f64 v[108:109], v[142:143], v[42:43]
	v_add_f64 v[42:43], v[146:147], v[44:45]
	v_add_f64 v[98:99], v[124:125], v[38:39]
	v_add_f64 v[106:107], v[124:125], -v[38:39]
	v_add_f64 v[38:39], v[32:33], v[42:43]
	v_add_f64 v[42:43], v[32:33], -v[42:43]
	v_mul_f64 v[32:33], v[112:113], s[0:1]
	v_add_f64 v[44:45], v[150:151], v[46:47]
	v_fmac_f64_e32 v[32:33], 0.5, v[148:149]
	v_mul_f64 v[46:47], v[112:113], 0.5
	v_add_f64 v[40:41], v[108:109], v[44:45]
	v_add_f64 v[44:45], v[108:109], -v[44:45]
	v_fmac_f64_e32 v[46:47], s[2:3], v[148:149]
	v_add_f64 v[108:109], v[144:145], v[32:33]
	v_add_f64 v[112:113], v[144:145], -v[32:33]
	v_add_f64 v[32:33], v[152:153], v[48:49]
	v_add_f64 v[52:53], v[154:155], v[52:53]
	;; [unrolled: 1-line block ×5, first 2 shown]
	v_add_f64 v[114:115], v[118:119], -v[46:47]
	v_add_f64 v[46:47], v[32:33], v[50:51]
	v_add_f64 v[48:49], v[52:53], v[54:55]
	v_add_f64 v[50:51], v[32:33], -v[50:51]
	v_add_f64 v[52:53], v[52:53], -v[54:55]
	v_mul_f64 v[32:33], v[166:167], s[0:1]
	v_mul_f64 v[54:55], v[166:167], 0.5
	v_fmac_f64_e32 v[32:33], 0.5, v[162:163]
	v_fmac_f64_e32 v[54:55], s[2:3], v[162:163]
	v_add_f64 v[76:77], v[136:137], v[100:101]
	v_add_f64 v[100:101], v[136:137], -v[100:101]
	v_add_f64 v[116:117], v[156:157], v[32:33]
	v_add_f64 v[118:119], v[158:159], v[54:55]
	v_add_f64 v[120:121], v[156:157], -v[32:33]
	v_add_f64 v[122:123], v[158:159], -v[54:55]
	ds_write_b128 v230, v[72:75]
	ds_write_b128 v224, v[64:67] offset:1280
	ds_write_b128 v224, v[0:3] offset:2560
	;; [unrolled: 1-line block ×29, first 2 shown]
	s_waitcnt lgkmcnt(0)
	; wave barrier
	s_waitcnt lgkmcnt(0)
	ds_read_b128 v[4:7], v230
	v_accvgpr_read_b32 v72, a82
	v_mad_u64_u32 v[32:33], s[0:1], s6, v72, 0
	v_accvgpr_read_b32 v10, a54
	v_mov_b32_e32 v54, v33
	v_accvgpr_read_b32 v12, a56
	v_accvgpr_read_b32 v13, a57
	v_mad_u64_u32 v[0:1], s[0:1], s7, v72, v[54:55]
	v_accvgpr_read_b32 v11, a55
	s_waitcnt lgkmcnt(0)
	v_mul_f64 v[8:9], v[12:13], v[6:7]
	v_fmac_f64_e32 v[8:9], v[10:11], v[4:5]
	s_mov_b32 s0, 0x11111111
	v_mul_f64 v[4:5], v[12:13], v[4:5]
	s_mov_b32 s1, 0x3f611111
	v_fma_f64 v[4:5], v[10:11], v[6:7], -v[4:5]
	v_accvgpr_read_b32 v7, a44
	v_mul_f64 v[10:11], v[4:5], s[0:1]
	v_mad_u64_u32 v[4:5], s[2:3], s4, v7, 0
	v_mov_b32_e32 v6, v5
	v_mov_b32_e32 v33, v0
	v_mad_u64_u32 v[6:7], s[2:3], s5, v7, v[6:7]
	v_mov_b32_e32 v5, v6
	v_lshlrev_b64 v[6:7], 4, v[32:33]
	v_mov_b32_e32 v12, s13
	v_add_co_u32_e32 v6, vcc, s12, v6
	v_addc_co_u32_e32 v7, vcc, v12, v7, vcc
	v_lshlrev_b64 v[4:5], 4, v[4:5]
	v_add_co_u32_e32 v16, vcc, v6, v4
	v_mul_f64 v[8:9], v[8:9], s[0:1]
	v_addc_co_u32_e32 v17, vcc, v7, v5, vcc
	global_store_dwordx4 v[16:17], v[8:11], off
	ds_read_b128 v[0:3], v224 offset:256
	ds_read_b128 v[4:7], v224 offset:512
	;; [unrolled: 1-line block ×3, first 2 shown]
	buffer_load_dword v18, off, s[24:27], 0 offset:52 ; 4-byte Folded Reload
	buffer_load_dword v19, off, s[24:27], 0 offset:56 ; 4-byte Folded Reload
	;; [unrolled: 1-line block ×4, first 2 shown]
	v_mov_b32_e32 v50, 0x300
	v_accvgpr_read_b32 v37, a15
	v_accvgpr_read_b32 v36, a14
	v_accvgpr_read_b32 v35, a13
	v_accvgpr_read_b32 v34, a12
	v_accvgpr_read_b32 v41, a27
	v_accvgpr_read_b32 v40, a26
	v_accvgpr_read_b32 v39, a25
	v_accvgpr_read_b32 v38, a24
	v_accvgpr_read_b32 v45, a19
	v_accvgpr_read_b32 v44, a18
	v_accvgpr_read_b32 v43, a17
	v_accvgpr_read_b32 v42, a16
	v_accvgpr_read_b32 v49, a35
	v_accvgpr_read_b32 v48, a34
	v_accvgpr_read_b32 v47, a33
	v_accvgpr_read_b32 v46, a32
	v_accvgpr_read_b32 v55, a31
	v_accvgpr_read_b32 v54, a30
	v_accvgpr_read_b32 v53, a29
	v_accvgpr_read_b32 v52, a28
	v_mov_b32_e32 v51, 0xffffe600
	s_waitcnt vmcnt(0) lgkmcnt(0)
	v_mul_f64 v[8:9], v[20:21], v[14:15]
	v_mul_f64 v[10:11], v[20:21], v[12:13]
	v_mad_u64_u32 v[20:21], s[2:3], s4, v50, v[16:17]
	v_fmac_f64_e32 v[8:9], v[18:19], v[12:13]
	v_fma_f64 v[10:11], v[18:19], v[14:15], -v[10:11]
	s_mul_i32 s2, s5, 0x300
	v_mul_f64 v[8:9], v[8:9], s[0:1]
	v_mul_f64 v[10:11], v[10:11], s[0:1]
	v_add_u32_e32 v21, s2, v21
	global_store_dwordx4 v[20:21], v[8:11], off
	ds_read_b128 v[12:15], v224 offset:1536
	ds_read_b128 v[16:19], v224 offset:1792
	buffer_load_dword v22, off, s[24:27], 0 offset:88 ; 4-byte Folded Reload
	buffer_load_dword v23, off, s[24:27], 0 offset:92 ; 4-byte Folded Reload
	;; [unrolled: 1-line block ×4, first 2 shown]
	s_mul_i32 s3, s5, 0xffffe600
	s_sub_i32 s3, s3, s4
	s_waitcnt vmcnt(0) lgkmcnt(1)
	v_mul_f64 v[8:9], v[24:25], v[14:15]
	v_mul_f64 v[10:11], v[24:25], v[12:13]
	v_fmac_f64_e32 v[8:9], v[22:23], v[12:13]
	v_fma_f64 v[10:11], v[22:23], v[14:15], -v[10:11]
	v_mad_u64_u32 v[24:25], s[6:7], s4, v50, v[20:21]
	v_mul_f64 v[8:9], v[8:9], s[0:1]
	v_mul_f64 v[10:11], v[10:11], s[0:1]
	v_add_u32_e32 v25, s2, v25
	global_store_dwordx4 v[24:25], v[8:11], off
	ds_read_b128 v[12:15], v224 offset:2304
	ds_read_b128 v[8:11], v224 offset:2048
	buffer_load_dword v26, off, s[24:27], 0 offset:68 ; 4-byte Folded Reload
	buffer_load_dword v27, off, s[24:27], 0 offset:72 ; 4-byte Folded Reload
	;; [unrolled: 1-line block ×4, first 2 shown]
	v_mad_u64_u32 v[32:33], s[6:7], s4, v50, v[24:25]
	v_add_u32_e32 v33, s2, v33
	s_waitcnt vmcnt(0) lgkmcnt(1)
	v_mul_f64 v[20:21], v[28:29], v[14:15]
	v_fmac_f64_e32 v[20:21], v[26:27], v[12:13]
	v_mul_f64 v[12:13], v[28:29], v[12:13]
	v_fma_f64 v[12:13], v[26:27], v[14:15], -v[12:13]
	v_mul_f64 v[22:23], v[12:13], s[0:1]
	ds_read_b128 v[12:15], v224 offset:3072
	ds_read_b128 v[24:27], v224 offset:3328
	v_accvgpr_read_b32 v31, a23
	v_mul_f64 v[20:21], v[20:21], s[0:1]
	v_accvgpr_read_b32 v30, a22
	global_store_dwordx4 v[32:33], v[20:23], off
	v_accvgpr_read_b32 v29, a21
	v_accvgpr_read_b32 v28, a20
	s_waitcnt lgkmcnt(1)
	v_mul_f64 v[20:21], v[30:31], v[14:15]
	v_fmac_f64_e32 v[20:21], v[28:29], v[12:13]
	v_mul_f64 v[12:13], v[30:31], v[12:13]
	v_fma_f64 v[12:13], v[28:29], v[14:15], -v[12:13]
	ds_read_b128 v[28:31], v224 offset:3840
	v_mad_u64_u32 v[32:33], s[6:7], s4, v50, v[32:33]
	v_mul_f64 v[20:21], v[20:21], s[0:1]
	v_mul_f64 v[22:23], v[12:13], s[0:1]
	ds_read_b128 v[12:15], v224 offset:3584
	v_add_u32_e32 v33, s2, v33
	global_store_dwordx4 v[32:33], v[20:23], off
	s_waitcnt lgkmcnt(1)
	v_mul_f64 v[20:21], v[36:37], v[30:31]
	v_mul_f64 v[22:23], v[36:37], v[28:29]
	v_fmac_f64_e32 v[20:21], v[34:35], v[28:29]
	v_fma_f64 v[22:23], v[34:35], v[30:31], -v[22:23]
	ds_read_b128 v[28:31], v224 offset:4608
	v_mad_u64_u32 v[36:37], s[6:7], s4, v50, v[32:33]
	ds_read_b128 v[32:35], v224 offset:4864
	v_mul_f64 v[20:21], v[20:21], s[0:1]
	v_mul_f64 v[22:23], v[22:23], s[0:1]
	v_add_u32_e32 v37, s2, v37
	global_store_dwordx4 v[36:37], v[20:23], off
	s_waitcnt lgkmcnt(1)
	v_mul_f64 v[20:21], v[40:41], v[30:31]
	v_mul_f64 v[22:23], v[40:41], v[28:29]
	v_fmac_f64_e32 v[20:21], v[38:39], v[28:29]
	v_fma_f64 v[22:23], v[38:39], v[30:31], -v[22:23]
	ds_read_b128 v[28:31], v224 offset:5376
	v_mad_u64_u32 v[40:41], s[6:7], s4, v50, v[36:37]
	v_mul_f64 v[20:21], v[20:21], s[0:1]
	v_mul_f64 v[22:23], v[22:23], s[0:1]
	v_add_u32_e32 v41, s2, v41
	global_store_dwordx4 v[40:41], v[20:23], off
	ds_read_b128 v[20:23], v224 offset:5120
	s_waitcnt lgkmcnt(1)
	v_mul_f64 v[36:37], v[44:45], v[30:31]
	v_fmac_f64_e32 v[36:37], v[42:43], v[28:29]
	v_mul_f64 v[28:29], v[44:45], v[28:29]
	v_fma_f64 v[28:29], v[42:43], v[30:31], -v[28:29]
	v_mul_f64 v[38:39], v[28:29], s[0:1]
	ds_read_b128 v[28:31], v224 offset:6144
	v_mad_u64_u32 v[44:45], s[6:7], s4, v50, v[40:41]
	v_mul_f64 v[36:37], v[36:37], s[0:1]
	v_add_u32_e32 v45, s2, v45
	global_store_dwordx4 v[44:45], v[36:39], off
	ds_read_b128 v[36:39], v224 offset:6400
	s_waitcnt lgkmcnt(1)
	v_mul_f64 v[40:41], v[48:49], v[30:31]
	v_fmac_f64_e32 v[40:41], v[46:47], v[28:29]
	v_mul_f64 v[28:29], v[48:49], v[28:29]
	v_fma_f64 v[28:29], v[46:47], v[30:31], -v[28:29]
	v_mul_f64 v[42:43], v[28:29], s[0:1]
	ds_read_b128 v[28:31], v224 offset:6912
	v_mad_u64_u32 v[48:49], s[6:7], s4, v50, v[44:45]
	v_mul_f64 v[40:41], v[40:41], s[0:1]
	v_add_u32_e32 v49, s2, v49
	global_store_dwordx4 v[48:49], v[40:43], off
	ds_read_b128 v[40:43], v224 offset:6656
	s_waitcnt lgkmcnt(1)
	v_mul_f64 v[44:45], v[54:55], v[30:31]
	v_fmac_f64_e32 v[44:45], v[52:53], v[28:29]
	v_mul_f64 v[28:29], v[54:55], v[28:29]
	v_fma_f64 v[28:29], v[52:53], v[30:31], -v[28:29]
	v_mad_u64_u32 v[48:49], s[6:7], s4, v50, v[48:49]
	v_mul_f64 v[44:45], v[44:45], s[0:1]
	v_mul_f64 v[46:47], v[28:29], s[0:1]
	v_add_u32_e32 v49, s2, v49
	global_store_dwordx4 v[48:49], v[44:47], off
	v_mad_u64_u32 v[48:49], s[6:7], s4, v51, v[48:49]
	v_accvgpr_read_b32 v47, a39
	v_accvgpr_read_b32 v46, a38
	;; [unrolled: 1-line block ×4, first 2 shown]
	v_mul_f64 v[28:29], v[46:47], v[2:3]
	v_fmac_f64_e32 v[28:29], v[44:45], v[0:1]
	v_mul_f64 v[0:1], v[46:47], v[0:1]
	v_fma_f64 v[0:1], v[44:45], v[2:3], -v[0:1]
	v_mul_f64 v[30:31], v[0:1], s[0:1]
	ds_read_b128 v[0:3], v224 offset:1024
	v_accvgpr_read_b32 v55, a43
	v_mul_f64 v[28:29], v[28:29], s[0:1]
	v_add_u32_e32 v49, s3, v49
	v_accvgpr_read_b32 v54, a42
	global_store_dwordx4 v[48:49], v[28:31], off
	ds_read_b128 v[28:31], v224 offset:1280
	v_accvgpr_read_b32 v53, a41
	v_accvgpr_read_b32 v52, a40
	s_waitcnt lgkmcnt(1)
	v_mul_f64 v[44:45], v[54:55], v[2:3]
	v_fmac_f64_e32 v[44:45], v[52:53], v[0:1]
	v_mul_f64 v[0:1], v[54:55], v[0:1]
	v_fma_f64 v[0:1], v[52:53], v[2:3], -v[0:1]
	v_mad_u64_u32 v[48:49], s[6:7], s4, v50, v[48:49]
	v_mul_f64 v[44:45], v[44:45], s[0:1]
	v_mul_f64 v[46:47], v[0:1], s[0:1]
	v_add_u32_e32 v49, s2, v49
	global_store_dwordx4 v[48:49], v[44:47], off
	v_mad_u64_u32 v[48:49], s[6:7], s4, v50, v[48:49]
	v_accvgpr_read_b32 v44, a46
	v_accvgpr_read_b32 v46, a48
	;; [unrolled: 1-line block ×4, first 2 shown]
	v_mul_f64 v[0:1], v[46:47], v[18:19]
	v_mul_f64 v[2:3], v[46:47], v[16:17]
	v_fmac_f64_e32 v[0:1], v[44:45], v[16:17]
	v_fma_f64 v[2:3], v[44:45], v[18:19], -v[2:3]
	ds_read_b128 v[16:19], v224 offset:2560
	v_accvgpr_read_b32 v55, a53
	v_mul_f64 v[0:1], v[0:1], s[0:1]
	v_mul_f64 v[2:3], v[2:3], s[0:1]
	v_add_u32_e32 v49, s2, v49
	v_accvgpr_read_b32 v54, a52
	global_store_dwordx4 v[48:49], v[0:3], off
	ds_read_b128 v[0:3], v224 offset:2816
	v_accvgpr_read_b32 v53, a51
	v_accvgpr_read_b32 v52, a50
	s_waitcnt lgkmcnt(1)
	v_mul_f64 v[44:45], v[54:55], v[18:19]
	v_fmac_f64_e32 v[44:45], v[52:53], v[16:17]
	v_mul_f64 v[16:17], v[54:55], v[16:17]
	v_fma_f64 v[16:17], v[52:53], v[18:19], -v[16:17]
	v_mad_u64_u32 v[48:49], s[6:7], s4, v50, v[48:49]
	v_mul_f64 v[44:45], v[44:45], s[0:1]
	v_mul_f64 v[46:47], v[16:17], s[0:1]
	v_add_u32_e32 v49, s2, v49
	global_store_dwordx4 v[48:49], v[44:47], off
	v_mad_u64_u32 v[48:49], s[6:7], s4, v50, v[48:49]
	v_accvgpr_read_b32 v44, a58
	v_accvgpr_read_b32 v46, a60
	v_accvgpr_read_b32 v47, a61
	v_accvgpr_read_b32 v45, a59
	v_mul_f64 v[16:17], v[46:47], v[26:27]
	v_mul_f64 v[18:19], v[46:47], v[24:25]
	v_fmac_f64_e32 v[16:17], v[44:45], v[24:25]
	v_fma_f64 v[18:19], v[44:45], v[26:27], -v[18:19]
	ds_read_b128 v[24:27], v224 offset:4096
	v_accvgpr_read_b32 v52, a62
	v_mul_f64 v[16:17], v[16:17], s[0:1]
	v_mul_f64 v[18:19], v[18:19], s[0:1]
	v_add_u32_e32 v49, s2, v49
	v_accvgpr_read_b32 v54, a64
	v_accvgpr_read_b32 v55, a65
	global_store_dwordx4 v[48:49], v[16:19], off
	ds_read_b128 v[16:19], v224 offset:4352
	v_accvgpr_read_b32 v53, a63
	s_waitcnt lgkmcnt(1)
	v_mul_f64 v[44:45], v[54:55], v[26:27]
	v_fmac_f64_e32 v[44:45], v[52:53], v[24:25]
	v_mul_f64 v[24:25], v[54:55], v[24:25]
	v_fma_f64 v[24:25], v[52:53], v[26:27], -v[24:25]
	v_mad_u64_u32 v[48:49], s[6:7], s4, v50, v[48:49]
	v_mul_f64 v[44:45], v[44:45], s[0:1]
	v_mul_f64 v[46:47], v[24:25], s[0:1]
	v_add_u32_e32 v49, s2, v49
	global_store_dwordx4 v[48:49], v[44:47], off
	v_mad_u64_u32 v[48:49], s[6:7], s4, v50, v[48:49]
	v_accvgpr_read_b32 v44, a70
	v_accvgpr_read_b32 v46, a72
	v_accvgpr_read_b32 v47, a73
	v_accvgpr_read_b32 v45, a71
	v_mul_f64 v[24:25], v[46:47], v[34:35]
	v_mul_f64 v[26:27], v[46:47], v[32:33]
	v_fmac_f64_e32 v[24:25], v[44:45], v[32:33]
	v_fma_f64 v[26:27], v[44:45], v[34:35], -v[26:27]
	ds_read_b128 v[32:35], v224 offset:5632
	v_accvgpr_read_b32 v52, a74
	v_mul_f64 v[24:25], v[24:25], s[0:1]
	v_mul_f64 v[26:27], v[26:27], s[0:1]
	v_add_u32_e32 v49, s2, v49
	v_accvgpr_read_b32 v54, a76
	v_accvgpr_read_b32 v55, a77
	global_store_dwordx4 v[48:49], v[24:27], off
	ds_read_b128 v[24:27], v224 offset:5888
	;; [unrolled: 29-line block ×3, first 2 shown]
	v_accvgpr_read_b32 v53, a67
	s_waitcnt lgkmcnt(1)
	v_mul_f64 v[44:45], v[54:55], v[38:39]
	v_fmac_f64_e32 v[44:45], v[52:53], v[36:37]
	v_mul_f64 v[36:37], v[54:55], v[36:37]
	v_fma_f64 v[36:37], v[52:53], v[38:39], -v[36:37]
	v_mad_u64_u32 v[48:49], s[6:7], s4, v50, v[48:49]
	v_mul_f64 v[44:45], v[44:45], s[0:1]
	v_mul_f64 v[46:47], v[36:37], s[0:1]
	v_add_u32_e32 v49, s2, v49
	global_store_dwordx4 v[48:49], v[44:47], off
	s_nop 0
	v_accvgpr_read_b32 v44, a84
	v_accvgpr_read_b32 v46, a86
	;; [unrolled: 1-line block ×4, first 2 shown]
	v_mul_f64 v[36:37], v[46:47], v[6:7]
	v_fmac_f64_e32 v[36:37], v[44:45], v[4:5]
	v_mul_f64 v[4:5], v[46:47], v[4:5]
	v_fma_f64 v[4:5], v[44:45], v[6:7], -v[4:5]
	v_mad_u64_u32 v[44:45], s[6:7], s4, v51, v[48:49]
	v_mul_f64 v[36:37], v[36:37], s[0:1]
	v_mul_f64 v[38:39], v[4:5], s[0:1]
	v_add_u32_e32 v45, s3, v45
	global_store_dwordx4 v[44:45], v[36:39], off
	s_nop 0
	v_accvgpr_read_b32 v36, a88
	v_accvgpr_read_b32 v38, a90
	;; [unrolled: 1-line block ×4, first 2 shown]
	v_mul_f64 v[4:5], v[38:39], v[30:31]
	v_mul_f64 v[6:7], v[38:39], v[28:29]
	v_fmac_f64_e32 v[4:5], v[36:37], v[28:29]
	v_fma_f64 v[6:7], v[36:37], v[30:31], -v[6:7]
	v_mad_u64_u32 v[28:29], s[6:7], s4, v50, v[44:45]
	v_accvgpr_read_b32 v36, a92
	v_mul_f64 v[4:5], v[4:5], s[0:1]
	v_mul_f64 v[6:7], v[6:7], s[0:1]
	v_add_u32_e32 v29, s2, v29
	v_accvgpr_read_b32 v38, a94
	v_accvgpr_read_b32 v39, a95
	global_store_dwordx4 v[28:29], v[4:7], off
	v_accvgpr_read_b32 v37, a93
	v_mul_f64 v[4:5], v[38:39], v[10:11]
	v_mul_f64 v[6:7], v[38:39], v[8:9]
	v_fmac_f64_e32 v[4:5], v[36:37], v[8:9]
	v_fma_f64 v[6:7], v[36:37], v[10:11], -v[6:7]
	v_mad_u64_u32 v[8:9], s[6:7], s4, v50, v[28:29]
	v_accvgpr_read_b32 v28, a96
	v_mul_f64 v[4:5], v[4:5], s[0:1]
	v_mul_f64 v[6:7], v[6:7], s[0:1]
	v_add_u32_e32 v9, s2, v9
	v_accvgpr_read_b32 v30, a98
	v_accvgpr_read_b32 v31, a99
	global_store_dwordx4 v[8:9], v[4:7], off
	v_accvgpr_read_b32 v29, a97
	v_mul_f64 v[4:5], v[30:31], v[2:3]
	v_fmac_f64_e32 v[4:5], v[28:29], v[0:1]
	v_mul_f64 v[0:1], v[30:31], v[0:1]
	v_fma_f64 v[0:1], v[28:29], v[2:3], -v[0:1]
	v_mad_u64_u32 v[8:9], s[6:7], s4, v50, v[8:9]
	v_mul_f64 v[4:5], v[4:5], s[0:1]
	v_mul_f64 v[6:7], v[0:1], s[0:1]
	v_add_u32_e32 v9, s2, v9
	global_store_dwordx4 v[8:9], v[4:7], off
	s_nop 0
	v_accvgpr_read_b32 v4, a100
	v_accvgpr_read_b32 v6, a102
	;; [unrolled: 1-line block ×4, first 2 shown]
	v_mul_f64 v[0:1], v[6:7], v[14:15]
	v_mul_f64 v[2:3], v[6:7], v[12:13]
	v_fmac_f64_e32 v[0:1], v[4:5], v[12:13]
	v_fma_f64 v[2:3], v[4:5], v[14:15], -v[2:3]
	v_mad_u64_u32 v[4:5], s[6:7], s4, v50, v[8:9]
	v_accvgpr_read_b32 v6, a104
	v_mul_f64 v[0:1], v[0:1], s[0:1]
	v_mul_f64 v[2:3], v[2:3], s[0:1]
	v_add_u32_e32 v5, s2, v5
	v_accvgpr_read_b32 v8, a106
	v_accvgpr_read_b32 v9, a107
	global_store_dwordx4 v[4:5], v[0:3], off
	v_accvgpr_read_b32 v7, a105
	v_mul_f64 v[0:1], v[8:9], v[18:19]
	v_mul_f64 v[2:3], v[8:9], v[16:17]
	v_fmac_f64_e32 v[0:1], v[6:7], v[16:17]
	v_fma_f64 v[2:3], v[6:7], v[18:19], -v[2:3]
	v_mad_u64_u32 v[4:5], s[6:7], s4, v50, v[4:5]
	v_accvgpr_read_b32 v6, a108
	v_mul_f64 v[0:1], v[0:1], s[0:1]
	v_mul_f64 v[2:3], v[2:3], s[0:1]
	v_add_u32_e32 v5, s2, v5
	v_accvgpr_read_b32 v8, a110
	v_accvgpr_read_b32 v9, a111
	global_store_dwordx4 v[4:5], v[0:3], off
	v_accvgpr_read_b32 v7, a109
	;; [unrolled: 13-line block ×5, first 2 shown]
	s_waitcnt lgkmcnt(0)
	v_mul_f64 v[0:1], v[8:9], v[34:35]
	v_mul_f64 v[2:3], v[8:9], v[32:33]
	v_fmac_f64_e32 v[0:1], v[6:7], v[32:33]
	v_fma_f64 v[2:3], v[6:7], v[34:35], -v[2:3]
	v_mul_f64 v[0:1], v[0:1], s[0:1]
	v_mul_f64 v[2:3], v[2:3], s[0:1]
	v_mad_u64_u32 v[4:5], s[0:1], s4, v50, v[4:5]
	v_add_u32_e32 v5, s2, v5
	global_store_dwordx4 v[4:5], v[0:3], off
.LBB0_10:
	s_endpgm
	.section	.rodata,"a",@progbits
	.p2align	6, 0x0
	.amdhsa_kernel bluestein_single_back_len480_dim1_dp_op_CI_CI
		.amdhsa_group_segment_fixed_size 30720
		.amdhsa_private_segment_fixed_size 108
		.amdhsa_kernarg_size 104
		.amdhsa_user_sgpr_count 6
		.amdhsa_user_sgpr_private_segment_buffer 1
		.amdhsa_user_sgpr_dispatch_ptr 0
		.amdhsa_user_sgpr_queue_ptr 0
		.amdhsa_user_sgpr_kernarg_segment_ptr 1
		.amdhsa_user_sgpr_dispatch_id 0
		.amdhsa_user_sgpr_flat_scratch_init 0
		.amdhsa_user_sgpr_kernarg_preload_length 0
		.amdhsa_user_sgpr_kernarg_preload_offset 0
		.amdhsa_user_sgpr_private_segment_size 0
		.amdhsa_uses_dynamic_stack 0
		.amdhsa_system_sgpr_private_segment_wavefront_offset 1
		.amdhsa_system_sgpr_workgroup_id_x 1
		.amdhsa_system_sgpr_workgroup_id_y 0
		.amdhsa_system_sgpr_workgroup_id_z 0
		.amdhsa_system_sgpr_workgroup_info 0
		.amdhsa_system_vgpr_workitem_id 0
		.amdhsa_next_free_vgpr 512
		.amdhsa_next_free_sgpr 28
		.amdhsa_accum_offset 256
		.amdhsa_reserve_vcc 1
		.amdhsa_reserve_flat_scratch 0
		.amdhsa_float_round_mode_32 0
		.amdhsa_float_round_mode_16_64 0
		.amdhsa_float_denorm_mode_32 3
		.amdhsa_float_denorm_mode_16_64 3
		.amdhsa_dx10_clamp 1
		.amdhsa_ieee_mode 1
		.amdhsa_fp16_overflow 0
		.amdhsa_tg_split 0
		.amdhsa_exception_fp_ieee_invalid_op 0
		.amdhsa_exception_fp_denorm_src 0
		.amdhsa_exception_fp_ieee_div_zero 0
		.amdhsa_exception_fp_ieee_overflow 0
		.amdhsa_exception_fp_ieee_underflow 0
		.amdhsa_exception_fp_ieee_inexact 0
		.amdhsa_exception_int_div_zero 0
	.end_amdhsa_kernel
	.text
.Lfunc_end0:
	.size	bluestein_single_back_len480_dim1_dp_op_CI_CI, .Lfunc_end0-bluestein_single_back_len480_dim1_dp_op_CI_CI
                                        ; -- End function
	.section	.AMDGPU.csdata,"",@progbits
; Kernel info:
; codeLenInByte = 31160
; NumSgprs: 32
; NumVgprs: 256
; NumAgprs: 256
; TotalNumVgprs: 512
; ScratchSize: 108
; MemoryBound: 0
; FloatMode: 240
; IeeeMode: 1
; LDSByteSize: 30720 bytes/workgroup (compile time only)
; SGPRBlocks: 3
; VGPRBlocks: 63
; NumSGPRsForWavesPerEU: 32
; NumVGPRsForWavesPerEU: 512
; AccumOffset: 256
; Occupancy: 1
; WaveLimiterHint : 1
; COMPUTE_PGM_RSRC2:SCRATCH_EN: 1
; COMPUTE_PGM_RSRC2:USER_SGPR: 6
; COMPUTE_PGM_RSRC2:TRAP_HANDLER: 0
; COMPUTE_PGM_RSRC2:TGID_X_EN: 1
; COMPUTE_PGM_RSRC2:TGID_Y_EN: 0
; COMPUTE_PGM_RSRC2:TGID_Z_EN: 0
; COMPUTE_PGM_RSRC2:TIDIG_COMP_CNT: 0
; COMPUTE_PGM_RSRC3_GFX90A:ACCUM_OFFSET: 63
; COMPUTE_PGM_RSRC3_GFX90A:TG_SPLIT: 0
	.text
	.p2alignl 6, 3212836864
	.fill 256, 4, 3212836864
	.type	__hip_cuid_e6a1043796baafe2,@object ; @__hip_cuid_e6a1043796baafe2
	.section	.bss,"aw",@nobits
	.globl	__hip_cuid_e6a1043796baafe2
__hip_cuid_e6a1043796baafe2:
	.byte	0                               ; 0x0
	.size	__hip_cuid_e6a1043796baafe2, 1

	.ident	"AMD clang version 19.0.0git (https://github.com/RadeonOpenCompute/llvm-project roc-6.4.0 25133 c7fe45cf4b819c5991fe208aaa96edf142730f1d)"
	.section	".note.GNU-stack","",@progbits
	.addrsig
	.addrsig_sym __hip_cuid_e6a1043796baafe2
	.amdgpu_metadata
---
amdhsa.kernels:
  - .agpr_count:     256
    .args:
      - .actual_access:  read_only
        .address_space:  global
        .offset:         0
        .size:           8
        .value_kind:     global_buffer
      - .actual_access:  read_only
        .address_space:  global
        .offset:         8
        .size:           8
        .value_kind:     global_buffer
      - .actual_access:  read_only
        .address_space:  global
        .offset:         16
        .size:           8
        .value_kind:     global_buffer
      - .actual_access:  read_only
        .address_space:  global
        .offset:         24
        .size:           8
        .value_kind:     global_buffer
      - .actual_access:  read_only
        .address_space:  global
        .offset:         32
        .size:           8
        .value_kind:     global_buffer
      - .offset:         40
        .size:           8
        .value_kind:     by_value
      - .address_space:  global
        .offset:         48
        .size:           8
        .value_kind:     global_buffer
      - .address_space:  global
        .offset:         56
        .size:           8
        .value_kind:     global_buffer
      - .address_space:  global
        .offset:         64
        .size:           8
        .value_kind:     global_buffer
      - .address_space:  global
        .offset:         72
        .size:           8
        .value_kind:     global_buffer
      - .offset:         80
        .size:           4
        .value_kind:     by_value
      - .address_space:  global
        .offset:         88
        .size:           8
        .value_kind:     global_buffer
      - .address_space:  global
        .offset:         96
        .size:           8
        .value_kind:     global_buffer
    .group_segment_fixed_size: 30720
    .kernarg_segment_align: 8
    .kernarg_segment_size: 104
    .language:       OpenCL C
    .language_version:
      - 2
      - 0
    .max_flat_workgroup_size: 64
    .name:           bluestein_single_back_len480_dim1_dp_op_CI_CI
    .private_segment_fixed_size: 108
    .sgpr_count:     32
    .sgpr_spill_count: 0
    .symbol:         bluestein_single_back_len480_dim1_dp_op_CI_CI.kd
    .uniform_work_group_size: 1
    .uses_dynamic_stack: false
    .vgpr_count:     512
    .vgpr_spill_count: 26
    .wavefront_size: 64
amdhsa.target:   amdgcn-amd-amdhsa--gfx90a
amdhsa.version:
  - 1
  - 2
...

	.end_amdgpu_metadata
